;; amdgpu-corpus repo=zjin-lcf/HeCBench kind=compiled arch=gfx1250 opt=O3
	.amdgcn_target "amdgcn-amd-amdhsa--gfx1250"
	.amdhsa_code_object_version 6
	.text
	.protected	_Z14lstm_inferencePKfS0_S0_S0_S0_S0_Pf ; -- Begin function _Z14lstm_inferencePKfS0_S0_S0_S0_S0_Pf
	.globl	_Z14lstm_inferencePKfS0_S0_S0_S0_S0_Pf
	.p2align	8
	.type	_Z14lstm_inferencePKfS0_S0_S0_S0_S0_Pf,@function
_Z14lstm_inferencePKfS0_S0_S0_S0_S0_Pf: ; @_Z14lstm_inferencePKfS0_S0_S0_S0_S0_Pf
; %bb.0:
	s_load_b32 s2, s[0:1], 0x44
	s_bfe_u32 s3, ttmp6, 0x4000c
	s_and_b32 s4, ttmp6, 15
	s_add_co_i32 s3, s3, 1
	s_getreg_b32 s5, hwreg(HW_REG_IB_STS2, 6, 4)
	s_mul_i32 s3, ttmp9, s3
	s_delay_alu instid0(SALU_CYCLE_1) | instskip(SKIP_4) | instid1(SALU_CYCLE_1)
	s_add_co_i32 s4, s4, s3
	s_wait_kmcnt 0x0
	s_and_b32 s2, s2, 0xffff
	s_cmp_eq_u32 s5, 0
	s_cselect_b32 s3, ttmp9, s4
	v_mad_u32 v0, s3, s2, v0
	s_mov_b32 s2, exec_lo
	s_delay_alu instid0(VALU_DEP_1)
	v_cmpx_gt_i32_e32 0x2000, v0
	s_cbranch_execz .LBB0_43
; %bb.1:
	s_clause 0x1
	s_load_b256 s[96:103], s[0:1], 0x0
	s_load_b128 s[28:31], s[0:1], 0x20
                                        ; implicit-def: $vgpr56 : SGPR spill to VGPR lane
	v_mul_lo_u32 v0, 0x4e20, v0
                                        ; implicit-def: $vgpr55 : SGPR spill to VGPR lane
	v_mov_b32_e32 v37, 0
	s_wait_kmcnt 0x0
	s_load_b256 s[20:27], s[100:101], 0x138
	s_load_b128 s[68:71], s[98:99], 0x40
	s_load_b64 s[34:35], s[0:1], 0x30
	s_load_b512 s[4:19], s[100:101], 0x0
	s_wait_xcnt 0x0
	s_load_b128 s[0:3], s[100:101], 0x158
	s_load_b32 s33, s[30:31], 0x0
                                        ; kill: killed $sgpr30_sgpr31
	s_load_b512 s[36:51], s[98:99], 0x0
	s_clause 0x2
	s_load_b96 s[72:74], s[100:101], 0x168
	s_load_b512 s[52:67], s[100:101], 0xf8
	s_load_b96 s[76:78], s[100:101], 0x184
	v_dual_mov_b32 v34, v37 :: v_dual_ashrrev_i32 v1, 31, v0
	v_dual_mov_b32 v35, v37 :: v_dual_mov_b32 v32, v37
	v_mov_b32_e32 v33, v37
	s_delay_alu instid0(VALU_DEP_3)
	v_lshlrev_b64_e32 v[18:19], 2, v[0:1]
	v_dual_mov_b32 v22, v37 :: v_dual_mov_b32 v24, v37
	v_dual_mov_b32 v26, v37 :: v_dual_mov_b32 v28, v37
	v_mov_b32_e32 v30, v37
	s_wait_kmcnt 0x0
	v_mov_b64_e32 v[6:7], s[0:1]
	v_mov_b64_e32 v[8:9], s[2:3]
	;; [unrolled: 1-line block ×3, first 2 shown]
	s_mov_b32 s0, s73
	s_mov_b32 s1, s74
	v_writelane_b32 v56, s0, 0
	s_mov_b32 s2, s7
	s_mov_b32 s3, s8
	s_load_b256 s[80:87], s[100:101], 0x40
	s_clause 0x1
	s_load_b32 s21, s[28:29], 0x10
	s_load_b128 s[88:91], s[28:29], 0x0
	s_mov_b32 s30, s23
	v_writelane_b32 v56, s1, 1
	s_mov_b32 s0, s70
	s_mov_b32 s1, s72
	s_mov_b32 s31, s24
	s_mov_b32 s24, s25
	v_writelane_b32 v56, s0, 2
	s_mov_b32 s25, s26
	s_mov_b32 s23, s22
	;; [unrolled: 1-line block ×4, first 2 shown]
	v_writelane_b32 v56, s1, 3
	s_mov_b32 s0, s51
	s_mov_b32 s1, s65
	s_wait_xcnt 0x0
	s_mov_b32 s28, s71
	v_mov_b64_e32 v[10:11], s[0:1]
	v_writelane_b32 v56, s2, 4
	s_mov_b32 s0, s77
	s_mov_b32 s1, s78
	s_clause 0x1
	s_load_b128 s[68:71], s[100:101], 0x60
	s_load_b128 s[92:95], s[100:101], 0x9c
	v_writelane_b32 v56, s3, 5
	s_mov_b32 s2, s15
	s_mov_b32 s3, s16
	v_mov_b64_e32 v[16:17], s[24:25]
	v_mov_b64_e32 v[2:3], s[26:27]
	v_writelane_b32 v56, s0, 6
	s_mov_b32 s26, s5
	v_add_nc_u64_e32 v[4:5], s[34:35], v[18:19]
	s_wait_kmcnt 0x0
	s_mov_b32 s34, s89
	s_mov_b32 s35, s90
	v_writelane_b32 v56, s1, 7
	s_mov_b32 s1, s76
	s_load_b256 s[72:79], s[100:101], 0x7c
	s_mov_b32 s27, s6
	v_mov_b64_e32 v[14:15], s[30:31]
	v_writelane_b32 v56, s2, 8
	s_mov_b32 s6, s41
	s_mov_b32 s16, s45
	v_add_nc_u64_e32 v[18:19], s[96:97], v[18:19]
	s_mov_b32 s45, s93
	v_writelane_b32 v56, s3, 9
	s_mov_b32 s2, s17
	s_mov_b32 s3, s18
	s_mov_b32 s18, s39
	s_mov_b32 s39, s14
	v_writelane_b32 v56, s2, 10
	s_mov_b32 s14, s43
	v_mov_b64_e32 v[12:13], s[22:23]
	v_mov_b64_e32 v[20:21], s[66:67]
	s_mov_b32 s8, s37
	v_writelane_b32 v56, s3, 11
	s_mov_b32 s2, s85
	s_mov_b32 s3, s86
	s_mov_b32 s37, s4
	s_mov_b32 s5, 0xbbbac73d
	v_writelane_b32 v56, s2, 12
	s_mov_b64 s[66:67], 0
	v_writelane_b32 v56, s3, 13
	s_mov_b32 s2, s87
	s_mov_b32 s3, s68
	v_writelane_b32 v56, s2, 14
	v_writelane_b32 v56, s3, 15
	s_wait_kmcnt 0x0
	s_mov_b32 s2, s77
	s_mov_b32 s3, s78
	v_writelane_b32 v56, s2, 16
	v_writelane_b32 v56, s3, 17
	s_mov_b32 s2, s79
	s_mov_b32 s3, s92
	v_writelane_b32 v56, s2, 18
	v_writelane_b32 v56, s3, 19
	s_mov_b64 s[2:3], s[94:95]
	v_writelane_b32 v56, s80, 20
	s_mov_b32 s41, s84
	v_writelane_b32 v56, s81, 21
	v_writelane_b32 v56, s82, 22
	;; [unrolled: 1-line block ×7, first 2 shown]
	s_load_b96 s[80:82], s[100:101], 0xac
	s_wait_kmcnt 0x0
	s_mov_b64 s[24:25], s[80:81]
	s_mov_b32 s17, s82
	v_writelane_b32 v56, s24, 28
	v_writelane_b32 v56, s25, 29
	;; [unrolled: 1-line block ×8, first 2 shown]
	s_mov_b32 s15, s76
	v_writelane_b32 v55, s73, 4
	v_writelane_b32 v55, s74, 5
	;; [unrolled: 1-line block ×7, first 2 shown]
	s_load_b96 s[72:74], s[100:101], 0x70
	s_wait_kmcnt 0x0
	s_mov_b64 s[24:25], s[72:73]
	s_mov_b32 s43, s74
	v_writelane_b32 v55, s24, 11
	v_writelane_b32 v55, s25, 12
	;; [unrolled: 1-line block ×4, first 2 shown]
	s_mov_b32 s7, s69
	v_writelane_b32 v55, s69, 15
	v_writelane_b32 v55, s70, 16
	;; [unrolled: 1-line block ×3, first 2 shown]
	s_load_b128 s[68:71], s[100:101], 0x174
	s_wait_kmcnt 0x0
	s_mov_b32 s0, s71
	s_mov_b32 s29, s70
	v_writelane_b32 v55, s0, 18
	v_writelane_b32 v55, s1, 19
	s_mov_b64 s[0:1], s[68:69]
	s_delay_alu instid0(SALU_CYCLE_1)
	v_writelane_b32 v55, s0, 20
	v_writelane_b32 v55, s1, 21
	;; [unrolled: 1-line block ×6, first 2 shown]
	s_clause 0x1
	s_load_b128 s[28:31], s[102:103], 0x40
	s_load_b512 s[68:83], s[102:103], 0x0
	s_wait_xcnt 0x0
	s_mov_b64 s[102:103], s[26:27]
	v_writelane_b32 v55, s88, 26
	s_mov_b32 s20, s91
	v_writelane_b32 v55, s89, 27
	v_writelane_b32 v55, s90, 28
	;; [unrolled: 1-line block ×3, first 2 shown]
	s_load_b512 s[84:99], s[100:101], 0xb8
	s_wait_xcnt 0x0
	s_mov_b64 s[100:101], s[20:21]
	s_branch .LBB0_3
.LBB0_2:                                ;   in Loop: Header=BB0_3 Depth=1
	s_or_b32 exec_lo, exec_lo, s0
	v_dual_mul_f32 v38, s88, v37 :: v_dual_mul_f32 v39, s93, v37
	v_dual_mul_f32 v40, s98, v37 :: v_dual_mul_f32 v41, s55, v37
	v_bfi_b32 v23, 0x7fffffff, v23, v22
	s_delay_alu instid0(VALU_DEP_3) | instskip(NEXT) | instid1(VALU_DEP_3)
	v_dual_fmac_f32 v38, s46, v36 :: v_dual_mul_f32 v37, s60, v37
	v_dual_fmac_f32 v39, s47, v36 :: v_dual_fmac_f32 v40, s48, v36
	s_delay_alu instid0(VALU_DEP_2) | instskip(NEXT) | instid1(VALU_DEP_2)
	v_dual_fmac_f32 v41, s49, v36 :: v_dual_fmac_f32 v38, s89, v34
	v_dual_fmac_f32 v37, s50, v36 :: v_dual_fmac_f32 v39, s94, v34
	s_delay_alu instid0(VALU_DEP_2) | instskip(NEXT) | instid1(VALU_DEP_2)
	v_dual_fmac_f32 v40, s99, v34 :: v_dual_fmac_f32 v41, s56, v34
	;; [unrolled: 3-line block ×5, first 2 shown]
	v_dual_fmac_f32 v39, s97, v33 :: v_dual_fmac_f32 v40, s54, v33
	s_delay_alu instid0(VALU_DEP_2) | instskip(NEXT) | instid1(VALU_DEP_2)
	v_dual_fmac_f32 v41, s59, v33 :: v_dual_add_f32 v32, s78, v38
	v_dual_fmac_f32 v37, s64, v33 :: v_dual_add_f32 v33, s79, v39
	s_delay_alu instid0(VALU_DEP_2) | instskip(NEXT) | instid1(VALU_DEP_2)
	v_dual_add_f32 v34, s80, v40 :: v_dual_add_f32 v35, s81, v41
	v_dual_mul_f32 v36, 0xbfb8aa3b, v32 :: v_dual_add_f32 v37, s82, v37
	s_delay_alu instid0(VALU_DEP_2) | instskip(SKIP_1) | instid1(VALU_DEP_3)
	v_dual_mul_f32 v38, 0xbfb8aa3b, v33 :: v_dual_mul_f32 v39, 0xbfb8aa3b, v34
	v_cmp_nlt_f32_e32 vcc_lo, 0x42ce8ed0, v32
	v_fma_f32 v41, 0xbfb8aa3b, v32, -v36
	v_rndne_f32_e32 v42, v36
	v_cmp_ngt_f32_e64 s0, 0xc2b17218, v32
	v_dual_mul_f32 v40, 0xbfb8aa3b, v35 :: v_dual_mul_f32 v43, 0xbfb8aa3b, v37
	s_delay_alu instid0(VALU_DEP_3)
	v_dual_fmac_f32 v41, 0xb2a5705f, v32 :: v_dual_sub_f32 v32, v36, v42
	v_fma_f32 v36, 0xbfb8aa3b, v33, -v38
	v_cmp_nlt_f32_e64 s1, 0x42ce8ed0, v33
	v_cmp_ngt_f32_e64 s2, 0xc2b17218, v33
	v_fma_f32 v44, 0xbfb8aa3b, v34, -v39
	v_add_f32_e32 v32, v32, v41
	v_rndne_f32_e32 v41, v38
	v_rndne_f32_e32 v45, v39
	v_fmac_f32_e32 v36, 0xb2a5705f, v33
	v_cvt_i32_f32_e32 v33, v42
	v_cmp_nlt_f32_e64 s3, 0x42ce8ed0, v34
	v_sub_f32_e32 v38, v38, v41
	v_exp_f32_e32 v32, v32
	v_cmp_ngt_f32_e64 s4, 0xc2b17218, v34
	v_fma_f32 v47, 0xbfb8aa3b, v37, -v43
	v_fmac_f32_e32 v44, 0xb2a5705f, v34
	v_rndne_f32_e32 v46, v40
	v_fma_f32 v42, 0xbfb8aa3b, v35, -v40
	v_bfi_b32 v25, 0x7fffffff, v25, v24
	v_ldexp_f32 v32, v32, v33
	v_sub_f32_e32 v34, v39, v45
	v_dual_fmac_f32 v47, 0xb2a5705f, v37 :: v_dual_sub_f32 v40, v40, v46
	v_cvt_i32_f32_e32 v39, v45
	s_delay_alu instid0(VALU_DEP_4) | instskip(NEXT) | instid1(VALU_DEP_4)
	v_cndmask_b32_e32 v32, 0, v32, vcc_lo
	v_add_f32_e32 v34, v34, v44
	v_fmac_f32_e32 v42, 0xb2a5705f, v35
	v_bfi_b32 v27, 0x7fffffff, v27, v26
	v_bfi_b32 v31, 0x7fffffff, v31, v30
	v_cndmask_b32_e64 v32, 0x7f800000, v32, s0
	v_exp_f32_e32 v34, v34
	v_cmp_nlt_f32_e64 s0, 0x42ce8ed0, v35
	s_delay_alu instid0(TRANS32_DEP_1) | instskip(SKIP_4) | instid1(VALU_DEP_4)
	v_ldexp_f32 v34, v34, v39
	v_dual_add_f32 v39, v40, v42 :: v_dual_add_f32 v33, v38, v36
	v_cvt_i32_f32_e32 v38, v41
	v_rndne_f32_e32 v36, v43
	v_cvt_i32_f32_e32 v42, v46
	v_exp_f32_e32 v39, v39
	v_exp_f32_e32 v33, v33
	v_cndmask_b32_e64 v34, 0, v34, s3
	s_delay_alu instid0(VALU_DEP_1) | instskip(NEXT) | instid1(TRANS32_DEP_1)
	v_cndmask_b32_e64 v34, 0x7f800000, v34, s4
	v_ldexp_f32 v33, v33, v38
	v_add_f32_e32 v32, 1.0, v32
	v_sub_f32_e32 v38, v43, v36
	v_cvt_i32_f32_e32 v36, v36
	s_delay_alu instid0(VALU_DEP_4) | instskip(NEXT) | instid1(VALU_DEP_4)
	v_dual_add_f32 v46, 1.0, v34 :: v_dual_cndmask_b32 v33, 0, v33, s1
	v_div_scale_f32 v41, null, v32, v32, 1.0
	s_delay_alu instid0(VALU_DEP_4) | instskip(SKIP_1) | instid1(VALU_DEP_3)
	v_add_f32_e32 v38, v38, v47
	v_div_scale_f32 v45, vcc_lo, 1.0, v32, 1.0
	v_rcp_f32_e32 v40, v41
	v_cndmask_b32_e64 v33, 0x7f800000, v33, s2
	s_delay_alu instid0(VALU_DEP_3) | instskip(SKIP_2) | instid1(VALU_DEP_3)
	v_exp_f32_e32 v38, v38
	v_ldexp_f32 v34, v39, v42
	v_cmp_nlt_f32_e64 s2, 0x42ce8ed0, v37
	v_add_f32_e32 v33, 1.0, v33
	s_delay_alu instid0(TRANS32_DEP_2) | instskip(NEXT) | instid1(VALU_DEP_4)
	v_fma_f32 v43, -v41, v40, 1.0
	v_cndmask_b32_e64 v34, 0, v34, s0
	s_delay_alu instid0(TRANS32_DEP_1) | instskip(SKIP_1) | instid1(VALU_DEP_4)
	v_ldexp_f32 v36, v38, v36
	v_div_scale_f32 v38, null, v46, v46, 1.0
	v_fmac_f32_e32 v40, v43, v40
	v_div_scale_f32 v44, null, v33, v33, 1.0
	s_delay_alu instid0(VALU_DEP_3) | instskip(SKIP_1) | instid1(VALU_DEP_3)
	v_rcp_f32_e32 v49, v38
	v_cmp_ngt_f32_e64 s0, 0xc2b17218, v35
	v_mul_f32_e32 v39, v45, v40
	s_delay_alu instid0(VALU_DEP_3)
	v_rcp_f32_e32 v43, v44
	v_cndmask_b32_e64 v35, 0, v36, s2
	v_cmp_ngt_f32_e64 s2, 0xc2b17218, v37
	v_cndmask_b32_e64 v34, 0x7f800000, v34, s0
	v_fma_f32 v47, -v41, v39, v45
	v_fma_f32 v37, -v38, v49, 1.0
	v_div_scale_f32 v48, s1, 1.0, v33, 1.0
	v_fma_f32 v42, -v44, v43, 1.0
	v_cndmask_b32_e64 v35, 0x7f800000, v35, s2
	s_delay_alu instid0(VALU_DEP_2) | instskip(SKIP_1) | instid1(VALU_DEP_3)
	v_dual_fmac_f32 v49, v37, v49 :: v_dual_fmac_f32 v43, v42, v43
	v_dual_add_f32 v42, 1.0, v34 :: v_dual_fmac_f32 v39, v47, v40
	v_add_f32_e32 v37, 1.0, v35
	s_delay_alu instid0(VALU_DEP_3) | instskip(NEXT) | instid1(VALU_DEP_3)
	v_mul_f32_e32 v36, v48, v43
	v_div_scale_f32 v35, null, v42, v42, 1.0
	s_delay_alu instid0(VALU_DEP_4) | instskip(NEXT) | instid1(VALU_DEP_4)
	v_fma_f32 v41, -v41, v39, v45
	v_div_scale_f32 v47, null, v37, v37, 1.0
	s_delay_alu instid0(VALU_DEP_4) | instskip(NEXT) | instid1(VALU_DEP_4)
	v_fma_f32 v34, -v44, v36, v48
	v_rcp_f32_e32 v50, v35
	s_delay_alu instid0(VALU_DEP_3) | instskip(NEXT) | instid1(VALU_DEP_3)
	v_div_fmas_f32 v39, v41, v40, v39
	v_rcp_f32_e32 v40, v47
	v_div_scale_f32 v45, s0, 1.0, v46, 1.0
	v_fmac_f32_e32 v36, v34, v43
	s_delay_alu instid0(VALU_DEP_3) | instskip(NEXT) | instid1(TRANS32_DEP_2)
	v_div_fixup_f32 v32, v39, v32, 1.0
	v_fma_f32 v41, -v35, v50, 1.0
	s_delay_alu instid0(VALU_DEP_4)
	v_mul_f32_e32 v34, v45, v49
	s_mov_b32 vcc_lo, s1
	v_fma_f32 v39, -v44, v36, v48
	v_fma_f32 v44, -v47, v40, 1.0
	v_fmac_f32_e32 v50, v41, v50
	v_fma_f32 v48, -v38, v34, v45
	v_div_scale_f32 v41, s2, 1.0, v42, 1.0
	s_delay_alu instid0(VALU_DEP_4) | instskip(SKIP_2) | instid1(VALU_DEP_4)
	v_fmac_f32_e32 v40, v44, v40
	v_div_scale_f32 v44, s3, 1.0, v37, 1.0
	v_div_fmas_f32 v36, v39, v43, v36
	v_dual_fmac_f32 v34, v48, v49 :: v_dual_mul_f32 v39, v41, v50
	s_delay_alu instid0(VALU_DEP_3) | instskip(SKIP_1) | instid1(VALU_DEP_3)
	v_mul_f32_e32 v43, v44, v40
	s_mov_b32 vcc_lo, s0
	v_div_fixup_f32 v33, v36, v33, 1.0
	s_delay_alu instid0(VALU_DEP_3) | instskip(NEXT) | instid1(VALU_DEP_3)
	v_dual_fma_f32 v36, -v38, v34, v45 :: v_dual_mul_f32 v23, v32, v23
	v_fma_f32 v45, -v47, v43, v44
	v_fma_f32 v38, -v35, v39, v41
	s_delay_alu instid0(VALU_DEP_3) | instskip(SKIP_1) | instid1(VALU_DEP_3)
	v_div_fmas_f32 v36, v36, v49, v34
	s_mov_b32 vcc_lo, s2
	v_fmac_f32_e32 v43, v45, v40
	s_delay_alu instid0(VALU_DEP_3) | instskip(NEXT) | instid1(VALU_DEP_3)
	v_dual_fmac_f32 v39, v38, v50 :: v_dual_mul_f32 v34, v33, v25
	v_div_fixup_f32 v25, v36, v46, 1.0
	s_delay_alu instid0(VALU_DEP_3) | instskip(NEXT) | instid1(VALU_DEP_3)
	v_fma_f32 v33, -v47, v43, v44
	v_fma_f32 v32, -v35, v39, v41
	s_delay_alu instid0(VALU_DEP_3) | instskip(SKIP_1) | instid1(VALU_DEP_3)
	v_mul_f32_e32 v35, v25, v27
	v_bfi_b32 v27, 0x7fffffff, v29, v28
	v_div_fmas_f32 v32, v32, v50, v39
	s_mov_b32 vcc_lo, s3
	v_readlane_b32 s0, v55, 26
	v_div_fmas_f32 v36, v33, v40, v43
	v_add_nc_u64_e32 v[40:41], s[66:67], v[4:5]
	v_div_fixup_f32 v25, v32, v42, 1.0
	v_mov_b64_e32 v[32:33], s[34:35]
	s_add_nc_u64 s[66:67], s[66:67], 4
	v_div_fixup_f32 v29, v36, v37, 1.0
	v_fma_f32 v36, v23, s0, s33
	v_mul_f32_e32 v38, v25, v27
	s_cmp_lg_u32 s66, 0x13880
	v_readlane_b32 s1, v55, 27
	v_pk_mul_f32 v[32:33], v[34:35], v[32:33]
	v_mul_f32_e32 v39, v29, v31
	v_readlane_b32 s2, v55, 28
	v_readlane_b32 s3, v55, 29
	s_delay_alu instid0(VALU_DEP_4) | instskip(SKIP_1) | instid1(VALU_DEP_2)
	v_add_f32_e32 v25, v36, v32
	v_mov_b64_e32 v[36:37], s[100:101]
	v_add_f32_e32 v25, v25, v33
	s_delay_alu instid0(VALU_DEP_2) | instskip(NEXT) | instid1(VALU_DEP_1)
	v_pk_mul_f32 v[32:33], v[38:39], v[36:37]
	v_dual_mov_b32 v37, v23 :: v_dual_add_f32 v25, v25, v32
	s_delay_alu instid0(VALU_DEP_1)
	v_dual_mov_b32 v32, v38 :: v_dual_add_f32 v25, v25, v33
	v_mov_b32_e32 v33, v39
	global_store_b32 v[40:41], v25, off
	s_cbranch_scc0 .LBB0_43
.LBB0_3:                                ; =>This Inner Loop Header: Depth=1
	v_add_nc_u64_e32 v[38:39], s[66:67], v[18:19]
	s_wait_xcnt 0x0
	v_pk_mul_f32 v[40:41], v[34:35], v[20:21]
                                        ; implicit-def: $vgpr42
	global_load_b32 v36, v[38:39], off
	s_wait_loadcnt 0x0
	s_wait_xcnt 0x0
	v_pk_mul_f32 v[38:39], v[36:37], v[10:11]
	s_delay_alu instid0(VALU_DEP_1) | instskip(SKIP_1) | instid1(VALU_DEP_2)
	v_add_f32_e32 v23, v38, v39
	v_pk_mul_f32 v[38:39], v[32:33], v[0:1]
	v_add_f32_e32 v23, v23, v40
	s_delay_alu instid0(VALU_DEP_1) | instskip(NEXT) | instid1(VALU_DEP_1)
	v_add_f32_e32 v23, v23, v41
	v_add_f32_e32 v23, v23, v38
	s_delay_alu instid0(VALU_DEP_1) | instskip(SKIP_1) | instid1(VALU_DEP_1)
	v_add_f32_e32 v23, v23, v39
	s_wait_kmcnt 0x0
	v_add_f32_e32 v23, s83, v23
	s_delay_alu instid0(VALU_DEP_1) | instskip(SKIP_1) | instid1(SALU_CYCLE_1)
	v_cmp_ngt_f32_e64 s0, 0x3f200000, |v23|
	s_and_saveexec_b32 s1, s0
	s_xor_b32 s0, exec_lo, s1
	s_cbranch_execz .LBB0_5
; %bb.4:                                ;   in Loop: Header=BB0_3 Depth=1
	v_add_f32_e64 v25, |v23|, |v23|
	s_delay_alu instid0(VALU_DEP_1) | instskip(SKIP_1) | instid1(VALU_DEP_2)
	v_mul_f32_e32 v27, 0x3fb8aa3b, v25
	v_cmp_ngt_f32_e32 vcc_lo, 0xc2ce8ed0, v25
	v_rndne_f32_e32 v29, v27
	v_fma_f32 v31, 0x3fb8aa3b, v25, -v27
	s_delay_alu instid0(VALU_DEP_2) | instskip(NEXT) | instid1(VALU_DEP_2)
	v_sub_f32_e32 v27, v27, v29
	v_fmac_f32_e32 v31, 0x32a5705f, v25
	v_cvt_i32_f32_e32 v29, v29
	s_delay_alu instid0(VALU_DEP_2) | instskip(NEXT) | instid1(VALU_DEP_1)
	v_add_f32_e32 v27, v27, v31
	v_exp_f32_e32 v27, v27
	v_nop
	s_delay_alu instid0(TRANS32_DEP_1) | instskip(NEXT) | instid1(VALU_DEP_1)
	v_ldexp_f32 v27, v27, v29
	v_cndmask_b32_e32 v27, 0, v27, vcc_lo
	v_cmp_nlt_f32_e32 vcc_lo, 0x42b17218, v25
	s_delay_alu instid0(VALU_DEP_2) | instskip(NEXT) | instid1(VALU_DEP_1)
	v_cndmask_b32_e32 v25, 0x7f800000, v27, vcc_lo
	v_add_f32_e32 v25, 1.0, v25
	s_delay_alu instid0(VALU_DEP_1) | instskip(SKIP_1) | instid1(TRANS32_DEP_1)
	v_rcp_f32_e32 v25, v25
	v_nop
	v_fma_f32 v42, v25, -2.0, 1.0
.LBB0_5:                                ;   in Loop: Header=BB0_3 Depth=1
	s_and_not1_saveexec_b32 s0, s0
	s_cbranch_execz .LBB0_7
; %bb.6:                                ;   in Loop: Header=BB0_3 Depth=1
	v_mul_f32_e32 v25, v23, v23
	s_delay_alu instid0(VALU_DEP_1) | instskip(NEXT) | instid1(VALU_DEP_1)
	v_fmaak_f32 v27, s5, v25, 0x3ca908c9
	v_fmaak_f32 v27, v25, v27, 0xbd5c1c4e
	s_delay_alu instid0(VALU_DEP_1) | instskip(NEXT) | instid1(VALU_DEP_1)
	v_fmaak_f32 v27, v25, v27, 0x3e088382
	v_fmaak_f32 v27, v25, v27, 0xbeaaaa99
	s_delay_alu instid0(VALU_DEP_1) | instskip(NEXT) | instid1(VALU_DEP_1)
	v_mul_f32_e64 v27, |v23|, v27
	v_fma_f32 v42, v25, v27, |v23|
.LBB0_7:                                ;   in Loop: Header=BB0_3 Depth=1
	s_or_b32 exec_lo, exec_lo, s0
	v_pk_mul_f32 v[38:39], v[36:37], v[12:13]
	v_pk_mul_f32 v[40:41], v[34:35], v[14:15]
	s_delay_alu instid0(VALU_DEP_2) | instskip(SKIP_1) | instid1(VALU_DEP_2)
	v_add_f32_e32 v25, v38, v39
	v_pk_mul_f32 v[38:39], v[32:33], v[16:17]
	v_add_f32_e32 v25, v25, v40
	s_delay_alu instid0(VALU_DEP_1) | instskip(NEXT) | instid1(VALU_DEP_1)
	v_add_f32_e32 v25, v25, v41
                                        ; implicit-def: $vgpr41
	v_add_f32_e32 v25, v25, v38
	s_delay_alu instid0(VALU_DEP_1) | instskip(NEXT) | instid1(VALU_DEP_1)
	v_add_f32_e32 v25, v25, v39
	v_add_f32_e32 v25, s28, v25
	s_delay_alu instid0(VALU_DEP_1) | instskip(SKIP_1) | instid1(SALU_CYCLE_1)
	v_cmp_ngt_f32_e64 s0, 0x3f200000, |v25|
	s_and_saveexec_b32 s1, s0
	s_xor_b32 s0, exec_lo, s1
	s_cbranch_execz .LBB0_9
; %bb.8:                                ;   in Loop: Header=BB0_3 Depth=1
	v_add_f32_e64 v27, |v25|, |v25|
	s_delay_alu instid0(VALU_DEP_1) | instskip(SKIP_1) | instid1(VALU_DEP_2)
	v_mul_f32_e32 v29, 0x3fb8aa3b, v27
	v_cmp_ngt_f32_e32 vcc_lo, 0xc2ce8ed0, v27
	v_rndne_f32_e32 v31, v29
	v_fma_f32 v38, 0x3fb8aa3b, v27, -v29
	s_delay_alu instid0(VALU_DEP_2) | instskip(NEXT) | instid1(VALU_DEP_2)
	v_sub_f32_e32 v29, v29, v31
	v_fmac_f32_e32 v38, 0x32a5705f, v27
	v_cvt_i32_f32_e32 v31, v31
	s_delay_alu instid0(VALU_DEP_2) | instskip(NEXT) | instid1(VALU_DEP_1)
	v_add_f32_e32 v29, v29, v38
	v_exp_f32_e32 v29, v29
	v_nop
	s_delay_alu instid0(TRANS32_DEP_1) | instskip(NEXT) | instid1(VALU_DEP_1)
	v_ldexp_f32 v29, v29, v31
	v_cndmask_b32_e32 v29, 0, v29, vcc_lo
	v_cmp_nlt_f32_e32 vcc_lo, 0x42b17218, v27
	s_delay_alu instid0(VALU_DEP_2) | instskip(NEXT) | instid1(VALU_DEP_1)
	v_cndmask_b32_e32 v27, 0x7f800000, v29, vcc_lo
	v_add_f32_e32 v27, 1.0, v27
	s_delay_alu instid0(VALU_DEP_1) | instskip(SKIP_1) | instid1(TRANS32_DEP_1)
	v_rcp_f32_e32 v27, v27
	v_nop
	v_fma_f32 v41, v27, -2.0, 1.0
.LBB0_9:                                ;   in Loop: Header=BB0_3 Depth=1
	s_and_not1_saveexec_b32 s0, s0
	s_cbranch_execz .LBB0_11
; %bb.10:                               ;   in Loop: Header=BB0_3 Depth=1
	v_mul_f32_e32 v27, v25, v25
	s_delay_alu instid0(VALU_DEP_1) | instskip(NEXT) | instid1(VALU_DEP_1)
	v_fmaak_f32 v29, s5, v27, 0x3ca908c9
	v_fmaak_f32 v29, v27, v29, 0xbd5c1c4e
	s_delay_alu instid0(VALU_DEP_1) | instskip(NEXT) | instid1(VALU_DEP_1)
	v_fmaak_f32 v29, v27, v29, 0x3e088382
	v_fmaak_f32 v29, v27, v29, 0xbeaaaa99
	s_delay_alu instid0(VALU_DEP_1) | instskip(NEXT) | instid1(VALU_DEP_1)
	v_mul_f32_e64 v29, |v25|, v29
	v_fma_f32 v41, v27, v29, |v25|
.LBB0_11:                               ;   in Loop: Header=BB0_3 Depth=1
	s_or_b32 exec_lo, exec_lo, s0
	v_pk_mul_f32 v[38:39], v[36:37], v[2:3]
	v_pk_mul_f32 v[44:45], v[34:35], v[6:7]
                                        ; implicit-def: $vgpr40
	s_delay_alu instid0(VALU_DEP_2) | instskip(SKIP_1) | instid1(VALU_DEP_2)
	v_add_f32_e32 v27, v38, v39
	v_pk_mul_f32 v[38:39], v[32:33], v[8:9]
	v_add_f32_e32 v27, v27, v44
	s_delay_alu instid0(VALU_DEP_1) | instskip(NEXT) | instid1(VALU_DEP_1)
	v_add_f32_e32 v27, v27, v45
	v_add_f32_e32 v27, v27, v38
	s_delay_alu instid0(VALU_DEP_1) | instskip(NEXT) | instid1(VALU_DEP_1)
	v_add_f32_e32 v27, v27, v39
	v_add_f32_e32 v27, s29, v27
	s_delay_alu instid0(VALU_DEP_1) | instskip(SKIP_1) | instid1(SALU_CYCLE_1)
	v_cmp_ngt_f32_e64 s0, 0x3f200000, |v27|
	s_and_saveexec_b32 s1, s0
	s_xor_b32 s0, exec_lo, s1
	s_cbranch_execz .LBB0_13
; %bb.12:                               ;   in Loop: Header=BB0_3 Depth=1
	v_add_f32_e64 v29, |v27|, |v27|
	s_delay_alu instid0(VALU_DEP_1) | instskip(SKIP_1) | instid1(VALU_DEP_2)
	v_mul_f32_e32 v31, 0x3fb8aa3b, v29
	v_cmp_ngt_f32_e32 vcc_lo, 0xc2ce8ed0, v29
	v_rndne_f32_e32 v38, v31
	v_fma_f32 v39, 0x3fb8aa3b, v29, -v31
	s_delay_alu instid0(VALU_DEP_2) | instskip(NEXT) | instid1(VALU_DEP_2)
	v_sub_f32_e32 v31, v31, v38
	v_fmac_f32_e32 v39, 0x32a5705f, v29
	v_cvt_i32_f32_e32 v38, v38
	s_delay_alu instid0(VALU_DEP_2) | instskip(NEXT) | instid1(VALU_DEP_1)
	v_add_f32_e32 v31, v31, v39
	v_exp_f32_e32 v31, v31
	v_nop
	s_delay_alu instid0(TRANS32_DEP_1) | instskip(NEXT) | instid1(VALU_DEP_1)
	v_ldexp_f32 v31, v31, v38
	v_cndmask_b32_e32 v31, 0, v31, vcc_lo
	v_cmp_nlt_f32_e32 vcc_lo, 0x42b17218, v29
	s_delay_alu instid0(VALU_DEP_2) | instskip(NEXT) | instid1(VALU_DEP_1)
	v_cndmask_b32_e32 v29, 0x7f800000, v31, vcc_lo
	v_add_f32_e32 v29, 1.0, v29
	s_delay_alu instid0(VALU_DEP_1) | instskip(SKIP_1) | instid1(TRANS32_DEP_1)
	v_rcp_f32_e32 v29, v29
	v_nop
	v_fma_f32 v40, v29, -2.0, 1.0
.LBB0_13:                               ;   in Loop: Header=BB0_3 Depth=1
	s_and_not1_saveexec_b32 s0, s0
	s_cbranch_execz .LBB0_15
; %bb.14:                               ;   in Loop: Header=BB0_3 Depth=1
	v_mul_f32_e32 v29, v27, v27
	s_delay_alu instid0(VALU_DEP_1) | instskip(NEXT) | instid1(VALU_DEP_1)
	v_fmaak_f32 v31, s5, v29, 0x3ca908c9
	v_fmaak_f32 v31, v29, v31, 0xbd5c1c4e
	s_delay_alu instid0(VALU_DEP_1) | instskip(NEXT) | instid1(VALU_DEP_1)
	v_fmaak_f32 v31, v29, v31, 0x3e088382
	v_fmaak_f32 v31, v29, v31, 0xbeaaaa99
	s_delay_alu instid0(VALU_DEP_1) | instskip(NEXT) | instid1(VALU_DEP_1)
	v_mul_f32_e64 v31, |v27|, v31
	v_fma_f32 v40, v29, v31, |v27|
.LBB0_15:                               ;   in Loop: Header=BB0_3 Depth=1
	s_or_b32 exec_lo, exec_lo, s0
	v_readlane_b32 s0, v56, 2
	v_readlane_b32 s1, v56, 3
	s_delay_alu instid0(VALU_DEP_1) | instskip(SKIP_2) | instid1(VALU_DEP_1)
	v_mov_b64_e32 v[38:39], s[0:1]
	v_readlane_b32 s0, v56, 0
	v_readlane_b32 s1, v56, 1
	v_mov_b64_e32 v[44:45], s[0:1]
	s_delay_alu instid0(VALU_DEP_4)
	v_pk_mul_f32 v[38:39], v[36:37], v[38:39]
	v_readlane_b32 s0, v55, 20
	v_readlane_b32 s1, v55, 21
	;; [unrolled: 1-line block ×4, first 2 shown]
	v_add_f32_e32 v29, v38, v39
	v_pk_mul_f32 v[44:45], v[34:35], v[44:45]
	v_mov_b64_e32 v[38:39], s[0:1]
	s_delay_alu instid0(VALU_DEP_2) | instskip(NEXT) | instid1(VALU_DEP_2)
	v_add_f32_e32 v29, v29, v44
	v_pk_mul_f32 v[38:39], v[32:33], v[38:39]
	s_delay_alu instid0(VALU_DEP_2) | instskip(NEXT) | instid1(VALU_DEP_1)
	v_add_f32_e32 v29, v29, v45
	v_add_f32_e32 v29, v29, v38
	s_delay_alu instid0(VALU_DEP_1) | instskip(NEXT) | instid1(VALU_DEP_1)
	v_add_f32_e32 v29, v29, v39
                                        ; implicit-def: $vgpr39
	v_add_f32_e32 v29, s30, v29
	s_delay_alu instid0(VALU_DEP_1) | instskip(SKIP_1) | instid1(SALU_CYCLE_1)
	v_cmp_ngt_f32_e64 s0, 0x3f200000, |v29|
	s_and_saveexec_b32 s1, s0
	s_xor_b32 s0, exec_lo, s1
	s_cbranch_execz .LBB0_17
; %bb.16:                               ;   in Loop: Header=BB0_3 Depth=1
	v_add_f32_e64 v31, |v29|, |v29|
	s_delay_alu instid0(VALU_DEP_1) | instskip(SKIP_1) | instid1(VALU_DEP_2)
	v_mul_f32_e32 v38, 0x3fb8aa3b, v31
	v_cmp_ngt_f32_e32 vcc_lo, 0xc2ce8ed0, v31
	v_rndne_f32_e32 v39, v38
	v_fma_f32 v43, 0x3fb8aa3b, v31, -v38
	s_delay_alu instid0(VALU_DEP_2) | instskip(NEXT) | instid1(VALU_DEP_2)
	v_sub_f32_e32 v38, v38, v39
	v_fmac_f32_e32 v43, 0x32a5705f, v31
	v_cvt_i32_f32_e32 v39, v39
	s_delay_alu instid0(VALU_DEP_2) | instskip(NEXT) | instid1(VALU_DEP_1)
	v_add_f32_e32 v38, v38, v43
	v_exp_f32_e32 v38, v38
	v_nop
	s_delay_alu instid0(TRANS32_DEP_1) | instskip(NEXT) | instid1(VALU_DEP_1)
	v_ldexp_f32 v38, v38, v39
	v_cndmask_b32_e32 v38, 0, v38, vcc_lo
	v_cmp_nlt_f32_e32 vcc_lo, 0x42b17218, v31
	s_delay_alu instid0(VALU_DEP_2) | instskip(NEXT) | instid1(VALU_DEP_1)
	v_cndmask_b32_e32 v31, 0x7f800000, v38, vcc_lo
	v_add_f32_e32 v31, 1.0, v31
	s_delay_alu instid0(VALU_DEP_1) | instskip(SKIP_1) | instid1(TRANS32_DEP_1)
	v_rcp_f32_e32 v31, v31
	v_nop
	v_fma_f32 v39, v31, -2.0, 1.0
.LBB0_17:                               ;   in Loop: Header=BB0_3 Depth=1
	s_and_not1_saveexec_b32 s0, s0
	s_cbranch_execz .LBB0_19
; %bb.18:                               ;   in Loop: Header=BB0_3 Depth=1
	v_mul_f32_e32 v31, v29, v29
	s_delay_alu instid0(VALU_DEP_1) | instskip(NEXT) | instid1(VALU_DEP_1)
	v_fmaak_f32 v38, s5, v31, 0x3ca908c9
	v_fmaak_f32 v38, v31, v38, 0xbd5c1c4e
	s_delay_alu instid0(VALU_DEP_1) | instskip(NEXT) | instid1(VALU_DEP_1)
	v_fmaak_f32 v38, v31, v38, 0x3e088382
	v_fmaak_f32 v38, v31, v38, 0xbeaaaa99
	s_delay_alu instid0(VALU_DEP_1) | instskip(NEXT) | instid1(VALU_DEP_1)
	v_mul_f32_e64 v38, |v29|, v38
	v_fma_f32 v39, v31, v38, |v29|
.LBB0_19:                               ;   in Loop: Header=BB0_3 Depth=1
	s_or_b32 exec_lo, exec_lo, s0
	v_readlane_b32 s0, v55, 24
	v_readlane_b32 s1, v55, 25
                                        ; implicit-def: $vgpr38
	s_delay_alu instid0(VALU_DEP_1) | instskip(SKIP_2) | instid1(VALU_DEP_1)
	v_mov_b64_e32 v[44:45], s[0:1]
	v_readlane_b32 s0, v55, 18
	v_readlane_b32 s1, v55, 19
	v_mov_b64_e32 v[46:47], s[0:1]
	s_delay_alu instid0(VALU_DEP_4) | instskip(SKIP_2) | instid1(VALU_DEP_3)
	v_pk_mul_f32 v[44:45], v[36:37], v[44:45]
	v_readlane_b32 s0, v56, 6
	v_readlane_b32 s1, v56, 7
	v_add_f32_e32 v31, v44, v45
	v_pk_mul_f32 v[46:47], v[34:35], v[46:47]
	s_delay_alu instid0(VALU_DEP_3) | instskip(NEXT) | instid1(VALU_DEP_2)
	v_mov_b64_e32 v[44:45], s[0:1]
	v_add_f32_e32 v31, v31, v46
	s_delay_alu instid0(VALU_DEP_2) | instskip(NEXT) | instid1(VALU_DEP_2)
	v_pk_mul_f32 v[44:45], v[32:33], v[44:45]
	v_add_f32_e32 v31, v31, v47
	s_delay_alu instid0(VALU_DEP_1) | instskip(NEXT) | instid1(VALU_DEP_1)
	v_add_f32_e32 v31, v31, v44
	v_add_f32_e32 v31, v31, v45
	s_delay_alu instid0(VALU_DEP_1) | instskip(NEXT) | instid1(VALU_DEP_1)
	v_add_f32_e32 v31, s31, v31
	v_cmp_ngt_f32_e64 s0, 0x3f200000, |v31|
	s_and_saveexec_b32 s1, s0
	s_delay_alu instid0(SALU_CYCLE_1)
	s_xor_b32 s0, exec_lo, s1
	s_cbranch_execz .LBB0_21
; %bb.20:                               ;   in Loop: Header=BB0_3 Depth=1
	v_add_f32_e64 v38, |v31|, |v31|
	s_delay_alu instid0(VALU_DEP_1) | instskip(SKIP_1) | instid1(VALU_DEP_2)
	v_mul_f32_e32 v43, 0x3fb8aa3b, v38
	v_cmp_ngt_f32_e32 vcc_lo, 0xc2ce8ed0, v38
	v_rndne_f32_e32 v44, v43
	v_fma_f32 v45, 0x3fb8aa3b, v38, -v43
	s_delay_alu instid0(VALU_DEP_2) | instskip(NEXT) | instid1(VALU_DEP_2)
	v_sub_f32_e32 v43, v43, v44
	v_fmac_f32_e32 v45, 0x32a5705f, v38
	v_cvt_i32_f32_e32 v44, v44
	s_delay_alu instid0(VALU_DEP_2) | instskip(NEXT) | instid1(VALU_DEP_1)
	v_add_f32_e32 v43, v43, v45
	v_exp_f32_e32 v43, v43
	v_nop
	s_delay_alu instid0(TRANS32_DEP_1) | instskip(NEXT) | instid1(VALU_DEP_1)
	v_ldexp_f32 v43, v43, v44
	v_cndmask_b32_e32 v43, 0, v43, vcc_lo
	v_cmp_nlt_f32_e32 vcc_lo, 0x42b17218, v38
	s_delay_alu instid0(VALU_DEP_2) | instskip(NEXT) | instid1(VALU_DEP_1)
	v_cndmask_b32_e32 v38, 0x7f800000, v43, vcc_lo
	v_add_f32_e32 v38, 1.0, v38
	s_delay_alu instid0(VALU_DEP_1) | instskip(SKIP_1) | instid1(TRANS32_DEP_1)
	v_rcp_f32_e32 v38, v38
	v_nop
	v_fma_f32 v38, v38, -2.0, 1.0
.LBB0_21:                               ;   in Loop: Header=BB0_3 Depth=1
	s_and_not1_saveexec_b32 s0, s0
	s_cbranch_execz .LBB0_23
; %bb.22:                               ;   in Loop: Header=BB0_3 Depth=1
	v_mul_f32_e32 v38, v31, v31
	s_delay_alu instid0(VALU_DEP_1) | instskip(NEXT) | instid1(VALU_DEP_1)
	v_fmaak_f32 v43, s5, v38, 0x3ca908c9
	v_fmaak_f32 v43, v38, v43, 0xbd5c1c4e
	s_delay_alu instid0(VALU_DEP_1) | instskip(NEXT) | instid1(VALU_DEP_1)
	v_fmaak_f32 v43, v38, v43, 0x3e088382
	v_fmaak_f32 v43, v38, v43, 0xbeaaaa99
	s_delay_alu instid0(VALU_DEP_1) | instskip(NEXT) | instid1(VALU_DEP_1)
	v_mul_f32_e64 v43, |v31|, v43
	v_fma_f32 v38, v38, v43, |v31|
.LBB0_23:                               ;   in Loop: Header=BB0_3 Depth=1
	s_or_b32 exec_lo, exec_lo, s0
	v_mov_b64_e32 v[44:45], s[36:37]
	v_mov_b64_e32 v[46:47], s[6:7]
	v_readlane_b32 s0, v55, 14
	v_readlane_b32 s2, v55, 16
	;; [unrolled: 1-line block ×5, first 2 shown]
	v_pk_mul_f32 v[44:45], v[36:37], v[44:45]
	v_pk_mul_f32 v[46:47], v[36:37], v[46:47]
	v_readlane_b32 s1, v56, 5
	v_mov_b64_e32 v[48:49], s[102:103]
	v_mov_b64_e32 v[50:51], s[2:3]
	s_delay_alu instid0(VALU_DEP_4) | instskip(NEXT) | instid1(VALU_DEP_4)
	v_dual_add_f32 v43, v44, v45 :: v_dual_add_f32 v52, v46, v47
	v_mov_b64_e32 v[46:47], s[0:1]
	v_readlane_b32 s0, v55, 11
	v_readlane_b32 s1, v55, 12
	v_pk_mul_f32 v[48:49], v[34:35], v[48:49]
	v_pk_mul_f32 v[44:45], v[34:35], v[50:51]
	v_readlane_b32 s2, v55, 13
	v_bfi_b32 v23, 0x7fffffff, v42, v23
	v_mov_b64_e32 v[50:51], s[0:1]
	v_pk_mul_f32 v[46:47], v[32:33], v[46:47]
	v_add_f32_e32 v44, v52, v44
	s_delay_alu instid0(VALU_DEP_1) | instskip(NEXT) | instid1(VALU_DEP_1)
	v_dual_add_f32 v43, v43, v48 :: v_dual_add_f32 v44, v44, v45
	v_add_f32_e32 v43, v43, v49
	v_pk_mul_f32 v[48:49], v[32:33], v[50:51]
	s_delay_alu instid0(VALU_DEP_1) | instskip(NEXT) | instid1(VALU_DEP_1)
	v_dual_add_f32 v43, v43, v46 :: v_dual_add_f32 v44, v44, v48
	v_dual_add_f32 v43, v43, v47 :: v_dual_add_f32 v44, v44, v49
	s_delay_alu instid0(VALU_DEP_1) | instskip(NEXT) | instid1(VALU_DEP_1)
	v_dual_add_f32 v43, s68, v43 :: v_dual_add_f32 v44, s73, v44
	v_dual_mul_f32 v45, 0xbfb8aa3b, v43 :: v_dual_mul_f32 v46, 0xbfb8aa3b, v44
	v_cmp_nlt_f32_e64 s0, 0x42ce8ed0, v44
	v_cmp_ngt_f32_e64 s2, 0xc2b17218, v44
	v_cmp_nlt_f32_e32 vcc_lo, 0x42ce8ed0, v43
	s_delay_alu instid0(VALU_DEP_4)
	v_fma_f32 v47, 0xbfb8aa3b, v43, -v45
	v_fma_f32 v49, 0xbfb8aa3b, v44, -v46
	v_rndne_f32_e32 v50, v46
	v_rndne_f32_e32 v48, v45
	v_cmp_ngt_f32_e64 s1, 0xc2b17218, v43
	v_fmac_f32_e32 v47, 0xb2a5705f, v43
	s_delay_alu instid0(VALU_DEP_4) | instskip(NEXT) | instid1(VALU_DEP_1)
	v_dual_fmac_f32 v49, 0xb2a5705f, v44 :: v_dual_sub_f32 v46, v46, v50
	v_dual_sub_f32 v45, v45, v48 :: v_dual_add_f32 v46, v46, v49
	s_delay_alu instid0(VALU_DEP_1) | instskip(SKIP_2) | instid1(VALU_DEP_4)
	v_add_f32_e32 v45, v45, v47
	v_cvt_i32_f32_e32 v47, v48
	v_cvt_i32_f32_e32 v48, v50
	v_exp_f32_e32 v46, v46
	v_nop
	s_delay_alu instid0(TRANS32_DEP_1) | instskip(NEXT) | instid1(VALU_DEP_1)
	v_ldexp_f32 v46, v46, v48
	v_cndmask_b32_e64 v44, 0, v46, s0
	v_exp_f32_e32 v45, v45
	s_delay_alu instid0(VALU_DEP_1) | instskip(NEXT) | instid1(TRANS32_DEP_1)
	v_cndmask_b32_e64 v44, 0x7f800000, v44, s2
	v_ldexp_f32 v45, v45, v47
	s_delay_alu instid0(VALU_DEP_1) | instskip(NEXT) | instid1(VALU_DEP_1)
	v_cndmask_b32_e32 v43, 0, v45, vcc_lo
	v_cndmask_b32_e64 v45, 0x7f800000, v43, s1
	s_delay_alu instid0(VALU_DEP_1) | instskip(NEXT) | instid1(VALU_DEP_1)
	v_pk_add_f32 v[44:45], v[44:45], 1.0 op_sel_hi:[1,0]
	v_div_scale_f32 v43, null, v45, v45, 1.0
	s_delay_alu instid0(VALU_DEP_2) | instskip(SKIP_1) | instid1(VALU_DEP_3)
	v_div_scale_f32 v46, null, v44, v44, 1.0
	v_div_scale_f32 v51, vcc_lo, 1.0, v45, 1.0
	v_rcp_f32_e32 v47, v43
	s_delay_alu instid0(VALU_DEP_2) | instskip(NEXT) | instid1(TRANS32_DEP_2)
	v_rcp_f32_e32 v48, v46
	v_fma_f32 v49, -v43, v47, 1.0
	s_delay_alu instid0(TRANS32_DEP_1) | instskip(NEXT) | instid1(VALU_DEP_1)
	v_fma_f32 v50, -v46, v48, 1.0
	v_dual_fmac_f32 v47, v49, v47 :: v_dual_fmac_f32 v48, v50, v48
	v_div_scale_f32 v49, s0, 1.0, v44, 1.0
	s_delay_alu instid0(VALU_DEP_2) | instskip(NEXT) | instid1(VALU_DEP_1)
	v_mul_f32_e32 v50, v51, v47
	v_fma_f32 v53, -v43, v50, v51
	s_delay_alu instid0(VALU_DEP_1) | instskip(NEXT) | instid1(VALU_DEP_1)
	v_fmac_f32_e32 v50, v53, v47
	v_dual_mul_f32 v52, v49, v48 :: v_dual_fma_f32 v43, -v43, v50, v51
	s_delay_alu instid0(VALU_DEP_1) | instskip(NEXT) | instid1(VALU_DEP_1)
	v_fma_f32 v54, -v46, v52, v49
	v_fmac_f32_e32 v52, v54, v48
	s_delay_alu instid0(VALU_DEP_3) | instskip(SKIP_1) | instid1(VALU_DEP_2)
	v_div_fmas_f32 v43, v43, v47, v50
	s_mov_b32 vcc_lo, s0
	v_fma_f32 v46, -v46, v52, v49
	s_delay_alu instid0(VALU_DEP_2) | instskip(NEXT) | instid1(VALU_DEP_2)
	v_div_fixup_f32 v43, v43, v45, 1.0
	v_div_fmas_f32 v42, v46, v48, v52
	s_delay_alu instid0(VALU_DEP_1) | instskip(NEXT) | instid1(VALU_DEP_3)
	v_div_fixup_f32 v42, v42, v44, 1.0
	v_mul_f32_e32 v44, v23, v43
	s_delay_alu instid0(VALU_DEP_1) | instskip(NEXT) | instid1(VALU_DEP_1)
	v_pk_fma_f32 v[22:23], v[22:23], v[42:43], v[44:45] op_sel_hi:[1,1,0]
                                        ; implicit-def: $vgpr23
	v_cmp_ngt_f32_e64 s0, 0x3f200000, |v22|
	s_and_saveexec_b32 s1, s0
	s_delay_alu instid0(SALU_CYCLE_1)
	s_xor_b32 s0, exec_lo, s1
	s_cbranch_execz .LBB0_25
; %bb.24:                               ;   in Loop: Header=BB0_3 Depth=1
	v_add_f32_e64 v23, |v22|, |v22|
	s_delay_alu instid0(VALU_DEP_1) | instskip(SKIP_1) | instid1(VALU_DEP_2)
	v_mul_f32_e32 v42, 0x3fb8aa3b, v23
	v_cmp_ngt_f32_e32 vcc_lo, 0xc2ce8ed0, v23
	v_rndne_f32_e32 v43, v42
	v_fma_f32 v44, 0x3fb8aa3b, v23, -v42
	s_delay_alu instid0(VALU_DEP_2) | instskip(NEXT) | instid1(VALU_DEP_2)
	v_sub_f32_e32 v42, v42, v43
	v_fmac_f32_e32 v44, 0x32a5705f, v23
	v_cvt_i32_f32_e32 v43, v43
	s_delay_alu instid0(VALU_DEP_2) | instskip(NEXT) | instid1(VALU_DEP_1)
	v_add_f32_e32 v42, v42, v44
	v_exp_f32_e32 v42, v42
	v_nop
	s_delay_alu instid0(TRANS32_DEP_1) | instskip(NEXT) | instid1(VALU_DEP_1)
	v_ldexp_f32 v42, v42, v43
	v_cndmask_b32_e32 v42, 0, v42, vcc_lo
	v_cmp_nlt_f32_e32 vcc_lo, 0x42b17218, v23
	s_delay_alu instid0(VALU_DEP_2) | instskip(NEXT) | instid1(VALU_DEP_1)
	v_cndmask_b32_e32 v23, 0x7f800000, v42, vcc_lo
	v_add_f32_e32 v23, 1.0, v23
	s_delay_alu instid0(VALU_DEP_1) | instskip(SKIP_1) | instid1(TRANS32_DEP_1)
	v_rcp_f32_e32 v23, v23
	v_nop
	v_fma_f32 v23, v23, -2.0, 1.0
.LBB0_25:                               ;   in Loop: Header=BB0_3 Depth=1
	s_and_not1_saveexec_b32 s0, s0
	s_cbranch_execz .LBB0_27
; %bb.26:                               ;   in Loop: Header=BB0_3 Depth=1
	v_mul_f32_e32 v23, v22, v22
	s_delay_alu instid0(VALU_DEP_1) | instskip(NEXT) | instid1(VALU_DEP_1)
	v_fmaak_f32 v42, s5, v23, 0x3ca908c9
	v_fmaak_f32 v42, v23, v42, 0xbd5c1c4e
	s_delay_alu instid0(VALU_DEP_1) | instskip(NEXT) | instid1(VALU_DEP_1)
	v_fmaak_f32 v42, v23, v42, 0x3e088382
	v_fmaak_f32 v42, v23, v42, 0xbeaaaa99
	s_delay_alu instid0(VALU_DEP_1) | instskip(NEXT) | instid1(VALU_DEP_1)
	v_mul_f32_e64 v42, |v22|, v42
	v_fma_f32 v23, v23, v42, |v22|
.LBB0_27:                               ;   in Loop: Header=BB0_3 Depth=1
	s_or_b32 exec_lo, exec_lo, s0
	v_mov_b64_e32 v[42:43], s[8:9]
	v_mov_b64_e32 v[44:45], s[42:43]
	v_readlane_b32 s20, v55, 3
	v_readlane_b32 s21, v55, 4
	v_mov_b64_e32 v[46:47], s[10:11]
	v_readlane_b32 s22, v55, 5
	v_readlane_b32 s23, v55, 6
	v_pk_mul_f32 v[42:43], v[36:37], v[42:43]
	v_pk_mul_f32 v[44:45], v[36:37], v[44:45]
	s_mov_b64 s[0:1], s[20:21]
	v_bfi_b32 v25, 0x7fffffff, v41, v25
	v_mov_b64_e32 v[48:49], s[0:1]
	s_delay_alu instid0(VALU_DEP_3)
	v_dual_add_f32 v50, v42, v43 :: v_dual_add_f32 v51, v44, v45
	v_mov_b64_e32 v[44:45], s[12:13]
	v_pk_mul_f32 v[46:47], v[34:35], v[46:47]
	s_mov_b64 s[2:3], s[22:23]
	v_readlane_b32 s24, v55, 7
	v_pk_mul_f32 v[42:43], v[34:35], v[48:49]
	v_mov_b64_e32 v[48:49], s[2:3]
	v_readlane_b32 s25, v55, 8
	v_pk_mul_f32 v[44:45], v[32:33], v[44:45]
	v_add_f32_e32 v46, v50, v46
	v_add_f32_e32 v42, v51, v42
	v_readlane_b32 s26, v55, 9
	v_readlane_b32 s27, v55, 10
	s_delay_alu instid0(VALU_DEP_4) | instskip(NEXT) | instid1(VALU_DEP_4)
	v_add_f32_e32 v50, v46, v47
	v_add_f32_e32 v42, v42, v43
	v_pk_mul_f32 v[46:47], v[32:33], v[48:49]
	s_delay_alu instid0(VALU_DEP_3) | instskip(NEXT) | instid1(VALU_DEP_1)
	v_add_f32_e32 v43, v50, v44
	v_dual_add_f32 v43, v43, v45 :: v_dual_add_f32 v42, v42, v46
	s_delay_alu instid0(VALU_DEP_1) | instskip(NEXT) | instid1(VALU_DEP_1)
	v_add_f32_e32 v43, s69, v43
	v_mul_f32_e32 v44, 0xbfb8aa3b, v43
	s_delay_alu instid0(VALU_DEP_3) | instskip(SKIP_2) | instid1(VALU_DEP_4)
	v_add_f32_e32 v42, v42, v47
	v_cmp_nlt_f32_e32 vcc_lo, 0x42ce8ed0, v43
	v_cmp_ngt_f32_e64 s1, 0xc2b17218, v43
	v_rndne_f32_e32 v47, v44
	v_fma_f32 v46, 0xbfb8aa3b, v43, -v44
	s_delay_alu instid0(VALU_DEP_2) | instskip(NEXT) | instid1(VALU_DEP_1)
	v_dual_sub_f32 v44, v44, v47 :: v_dual_add_f32 v42, s74, v42
	v_mul_f32_e32 v45, 0xbfb8aa3b, v42
	s_delay_alu instid0(VALU_DEP_1) | instskip(SKIP_1) | instid1(VALU_DEP_1)
	v_fma_f32 v48, 0xbfb8aa3b, v42, -v45
	v_rndne_f32_e32 v49, v45
	v_dual_sub_f32 v45, v45, v49 :: v_dual_fmac_f32 v48, 0xb2a5705f, v42
	v_fmac_f32_e32 v46, 0xb2a5705f, v43
	v_cmp_nlt_f32_e64 s0, 0x42ce8ed0, v42
	v_cmp_ngt_f32_e64 s2, 0xc2b17218, v42
	s_delay_alu instid0(VALU_DEP_3) | instskip(SKIP_2) | instid1(VALU_DEP_3)
	v_dual_add_f32 v45, v45, v48 :: v_dual_add_f32 v44, v44, v46
	v_cvt_i32_f32_e32 v46, v47
	v_cvt_i32_f32_e32 v47, v49
	v_exp_f32_e32 v45, v45
	s_delay_alu instid0(VALU_DEP_3) | instskip(NEXT) | instid1(TRANS32_DEP_2)
	v_exp_f32_e32 v44, v44
	v_ldexp_f32 v45, v45, v47
	s_delay_alu instid0(TRANS32_DEP_1) | instskip(NEXT) | instid1(VALU_DEP_1)
	v_ldexp_f32 v44, v44, v46
	v_dual_cndmask_b32 v42, 0, v44, vcc_lo :: v_dual_cndmask_b32 v44, 0, v45, s0
	s_delay_alu instid0(VALU_DEP_1) | instskip(NEXT) | instid1(VALU_DEP_2)
	v_cndmask_b32_e64 v43, 0x7f800000, v42, s1
	v_cndmask_b32_e64 v42, 0x7f800000, v44, s2
	s_delay_alu instid0(VALU_DEP_1) | instskip(NEXT) | instid1(VALU_DEP_1)
	v_pk_add_f32 v[42:43], v[42:43], 1.0 op_sel_hi:[1,0]
	v_div_scale_f32 v44, null, v43, v43, 1.0
	s_delay_alu instid0(VALU_DEP_2) | instskip(SKIP_1) | instid1(VALU_DEP_3)
	v_div_scale_f32 v45, null, v42, v42, 1.0
	v_div_scale_f32 v50, vcc_lo, 1.0, v43, 1.0
	v_rcp_f32_e32 v46, v44
	s_delay_alu instid0(VALU_DEP_2) | instskip(NEXT) | instid1(TRANS32_DEP_2)
	v_rcp_f32_e32 v47, v45
	v_fma_f32 v48, -v44, v46, 1.0
	s_delay_alu instid0(TRANS32_DEP_1) | instskip(NEXT) | instid1(VALU_DEP_1)
	v_fma_f32 v49, -v45, v47, 1.0
	v_dual_fmac_f32 v47, v49, v47 :: v_dual_fmac_f32 v46, v48, v46
	v_div_scale_f32 v48, s0, 1.0, v42, 1.0
	s_delay_alu instid0(VALU_DEP_1) | instskip(NEXT) | instid1(VALU_DEP_1)
	v_dual_mul_f32 v51, v48, v47 :: v_dual_mul_f32 v49, v50, v46
	v_dual_fma_f32 v53, -v45, v51, v48 :: v_dual_fma_f32 v52, -v44, v49, v50
	s_delay_alu instid0(VALU_DEP_1) | instskip(NEXT) | instid1(VALU_DEP_1)
	v_dual_fmac_f32 v51, v53, v47 :: v_dual_fmac_f32 v49, v52, v46
	v_dual_fma_f32 v45, -v45, v51, v48 :: v_dual_fma_f32 v44, -v44, v49, v50
	s_delay_alu instid0(VALU_DEP_1) | instskip(SKIP_1) | instid1(VALU_DEP_2)
	v_div_fmas_f32 v44, v44, v46, v49
	s_mov_b32 vcc_lo, s0
	v_div_fmas_f32 v41, v45, v47, v51
	s_delay_alu instid0(VALU_DEP_2) | instskip(NEXT) | instid1(VALU_DEP_2)
	v_div_fixup_f32 v43, v44, v43, 1.0
	v_div_fixup_f32 v42, v41, v42, 1.0
	s_delay_alu instid0(VALU_DEP_2) | instskip(NEXT) | instid1(VALU_DEP_1)
	v_mul_f32_e32 v44, v25, v43
	v_pk_fma_f32 v[24:25], v[24:25], v[42:43], v[44:45] op_sel_hi:[1,1,0]
                                        ; implicit-def: $vgpr25
	s_delay_alu instid0(VALU_DEP_1) | instskip(SKIP_1) | instid1(SALU_CYCLE_1)
	v_cmp_ngt_f32_e64 s0, 0x3f200000, |v24|
	s_and_saveexec_b32 s1, s0
	s_xor_b32 s0, exec_lo, s1
	s_cbranch_execz .LBB0_29
; %bb.28:                               ;   in Loop: Header=BB0_3 Depth=1
	v_add_f32_e64 v25, |v24|, |v24|
	s_delay_alu instid0(VALU_DEP_1) | instskip(SKIP_1) | instid1(VALU_DEP_2)
	v_mul_f32_e32 v41, 0x3fb8aa3b, v25
	v_cmp_ngt_f32_e32 vcc_lo, 0xc2ce8ed0, v25
	v_rndne_f32_e32 v42, v41
	v_fma_f32 v43, 0x3fb8aa3b, v25, -v41
	s_delay_alu instid0(VALU_DEP_2) | instskip(NEXT) | instid1(VALU_DEP_2)
	v_sub_f32_e32 v41, v41, v42
	v_fmac_f32_e32 v43, 0x32a5705f, v25
	v_cvt_i32_f32_e32 v42, v42
	s_delay_alu instid0(VALU_DEP_2) | instskip(NEXT) | instid1(VALU_DEP_1)
	v_add_f32_e32 v41, v41, v43
	v_exp_f32_e32 v41, v41
	v_nop
	s_delay_alu instid0(TRANS32_DEP_1) | instskip(NEXT) | instid1(VALU_DEP_1)
	v_ldexp_f32 v41, v41, v42
	v_cndmask_b32_e32 v41, 0, v41, vcc_lo
	v_cmp_nlt_f32_e32 vcc_lo, 0x42b17218, v25
	s_delay_alu instid0(VALU_DEP_2) | instskip(NEXT) | instid1(VALU_DEP_1)
	v_cndmask_b32_e32 v25, 0x7f800000, v41, vcc_lo
	v_add_f32_e32 v25, 1.0, v25
	s_delay_alu instid0(VALU_DEP_1) | instskip(SKIP_1) | instid1(TRANS32_DEP_1)
	v_rcp_f32_e32 v25, v25
	v_nop
	v_fma_f32 v25, v25, -2.0, 1.0
.LBB0_29:                               ;   in Loop: Header=BB0_3 Depth=1
	s_and_not1_saveexec_b32 s0, s0
	s_cbranch_execz .LBB0_31
; %bb.30:                               ;   in Loop: Header=BB0_3 Depth=1
	v_mul_f32_e32 v25, v24, v24
	s_delay_alu instid0(VALU_DEP_1) | instskip(NEXT) | instid1(VALU_DEP_1)
	v_fmaak_f32 v41, s5, v25, 0x3ca908c9
	v_fmaak_f32 v41, v25, v41, 0xbd5c1c4e
	s_delay_alu instid0(VALU_DEP_1) | instskip(NEXT) | instid1(VALU_DEP_1)
	v_fmaak_f32 v41, v25, v41, 0x3e088382
	v_fmaak_f32 v41, v25, v41, 0xbeaaaa99
	s_delay_alu instid0(VALU_DEP_1) | instskip(NEXT) | instid1(VALU_DEP_1)
	v_mul_f32_e64 v41, |v24|, v41
	v_fma_f32 v25, v25, v41, |v24|
.LBB0_31:                               ;   in Loop: Header=BB0_3 Depth=1
	s_or_b32 exec_lo, exec_lo, s0
	v_readlane_b32 s0, v56, 8
	v_readlane_b32 s1, v56, 9
	v_mov_b64_e32 v[42:43], s[38:39]
	v_mov_b64_e32 v[44:45], s[14:15]
	v_bfi_b32 v27, 0x7fffffff, v40, v27
	s_delay_alu instid0(VALU_DEP_4) | instskip(SKIP_4) | instid1(VALU_DEP_3)
	v_mov_b64_e32 v[46:47], s[0:1]
	v_readlane_b32 s0, v56, 16
	v_readlane_b32 s1, v56, 17
	v_pk_mul_f32 v[42:43], v[36:37], v[42:43]
	v_pk_mul_f32 v[44:45], v[36:37], v[44:45]
	v_mov_b64_e32 v[48:49], s[0:1]
	v_readlane_b32 s0, v56, 10
	v_readlane_b32 s1, v56, 11
	s_delay_alu instid0(VALU_DEP_4) | instskip(SKIP_1) | instid1(VALU_DEP_3)
	v_dual_add_f32 v41, v42, v43 :: v_dual_add_f32 v50, v44, v45
	v_pk_mul_f32 v[46:47], v[34:35], v[46:47]
	v_mov_b64_e32 v[44:45], s[0:1]
	v_readlane_b32 s0, v56, 18
	v_readlane_b32 s1, v56, 19
	v_pk_mul_f32 v[42:43], v[34:35], v[48:49]
	s_delay_alu instid0(VALU_DEP_2) | instskip(NEXT) | instid1(VALU_DEP_2)
	v_mov_b64_e32 v[48:49], s[0:1]
	v_add_f32_e32 v42, v50, v42
	v_add_f32_e32 v41, v41, v46
	v_pk_mul_f32 v[44:45], v[32:33], v[44:45]
	s_delay_alu instid0(VALU_DEP_3) | instskip(NEXT) | instid1(VALU_DEP_3)
	v_add_f32_e32 v42, v42, v43
	v_add_f32_e32 v41, v41, v47
	v_pk_mul_f32 v[46:47], v[32:33], v[48:49]
	s_delay_alu instid0(VALU_DEP_1) | instskip(NEXT) | instid1(VALU_DEP_1)
	v_dual_add_f32 v41, v41, v44 :: v_dual_add_f32 v42, v42, v46
	v_dual_add_f32 v41, v41, v45 :: v_dual_add_f32 v42, v42, v47
	s_delay_alu instid0(VALU_DEP_1) | instskip(NEXT) | instid1(VALU_DEP_1)
	v_dual_add_f32 v41, s70, v41 :: v_dual_add_f32 v42, s75, v42
	v_dual_mul_f32 v43, 0xbfb8aa3b, v41 :: v_dual_mul_f32 v44, 0xbfb8aa3b, v42
	v_cmp_nlt_f32_e64 s0, 0x42ce8ed0, v42
	v_cmp_ngt_f32_e64 s2, 0xc2b17218, v42
	v_cmp_nlt_f32_e32 vcc_lo, 0x42ce8ed0, v41
	s_delay_alu instid0(VALU_DEP_4)
	v_fma_f32 v45, 0xbfb8aa3b, v41, -v43
	v_fma_f32 v47, 0xbfb8aa3b, v42, -v44
	v_rndne_f32_e32 v48, v44
	v_rndne_f32_e32 v46, v43
	v_cmp_ngt_f32_e64 s1, 0xc2b17218, v41
	v_fmac_f32_e32 v45, 0xb2a5705f, v41
	s_delay_alu instid0(VALU_DEP_4) | instskip(NEXT) | instid1(VALU_DEP_1)
	v_dual_fmac_f32 v47, 0xb2a5705f, v42 :: v_dual_sub_f32 v44, v44, v48
	v_dual_sub_f32 v43, v43, v46 :: v_dual_add_f32 v44, v44, v47
	s_delay_alu instid0(VALU_DEP_1) | instskip(SKIP_2) | instid1(VALU_DEP_4)
	v_add_f32_e32 v43, v43, v45
	v_cvt_i32_f32_e32 v45, v46
	v_cvt_i32_f32_e32 v46, v48
	v_exp_f32_e32 v44, v44
	v_nop
	s_delay_alu instid0(TRANS32_DEP_1) | instskip(NEXT) | instid1(VALU_DEP_1)
	v_ldexp_f32 v44, v44, v46
	v_cndmask_b32_e64 v42, 0, v44, s0
	v_exp_f32_e32 v43, v43
	s_delay_alu instid0(VALU_DEP_1) | instskip(NEXT) | instid1(TRANS32_DEP_1)
	v_cndmask_b32_e64 v42, 0x7f800000, v42, s2
	v_ldexp_f32 v43, v43, v45
	s_delay_alu instid0(VALU_DEP_1) | instskip(NEXT) | instid1(VALU_DEP_1)
	v_cndmask_b32_e32 v41, 0, v43, vcc_lo
	v_cndmask_b32_e64 v43, 0x7f800000, v41, s1
	s_delay_alu instid0(VALU_DEP_1) | instskip(NEXT) | instid1(VALU_DEP_1)
	v_pk_add_f32 v[42:43], v[42:43], 1.0 op_sel_hi:[1,0]
	v_div_scale_f32 v41, null, v43, v43, 1.0
	s_delay_alu instid0(VALU_DEP_2) | instskip(SKIP_1) | instid1(VALU_DEP_3)
	v_div_scale_f32 v44, null, v42, v42, 1.0
	v_div_scale_f32 v49, vcc_lo, 1.0, v43, 1.0
	v_rcp_f32_e32 v45, v41
	s_delay_alu instid0(VALU_DEP_2) | instskip(NEXT) | instid1(TRANS32_DEP_2)
	v_rcp_f32_e32 v46, v44
	v_fma_f32 v47, -v41, v45, 1.0
	s_delay_alu instid0(TRANS32_DEP_1) | instskip(NEXT) | instid1(VALU_DEP_1)
	v_fma_f32 v48, -v44, v46, 1.0
	v_dual_fmac_f32 v45, v47, v45 :: v_dual_fmac_f32 v46, v48, v46
	v_div_scale_f32 v47, s0, 1.0, v42, 1.0
	s_delay_alu instid0(VALU_DEP_2) | instskip(NEXT) | instid1(VALU_DEP_1)
	v_mul_f32_e32 v48, v49, v45
	v_fma_f32 v51, -v41, v48, v49
	s_delay_alu instid0(VALU_DEP_1) | instskip(NEXT) | instid1(VALU_DEP_1)
	v_fmac_f32_e32 v48, v51, v45
	v_dual_mul_f32 v50, v47, v46 :: v_dual_fma_f32 v41, -v41, v48, v49
	s_delay_alu instid0(VALU_DEP_1) | instskip(NEXT) | instid1(VALU_DEP_1)
	v_fma_f32 v52, -v44, v50, v47
	v_fmac_f32_e32 v50, v52, v46
	s_delay_alu instid0(VALU_DEP_3) | instskip(SKIP_1) | instid1(VALU_DEP_2)
	v_div_fmas_f32 v41, v41, v45, v48
	s_mov_b32 vcc_lo, s0
	v_fma_f32 v44, -v44, v50, v47
	s_delay_alu instid0(VALU_DEP_2) | instskip(NEXT) | instid1(VALU_DEP_2)
	v_div_fixup_f32 v41, v41, v43, 1.0
	v_div_fmas_f32 v40, v44, v46, v50
	s_delay_alu instid0(VALU_DEP_1) | instskip(NEXT) | instid1(VALU_DEP_3)
	v_div_fixup_f32 v40, v40, v42, 1.0
	v_mul_f32_e32 v42, v27, v41
	s_delay_alu instid0(VALU_DEP_1) | instskip(NEXT) | instid1(VALU_DEP_1)
	v_pk_fma_f32 v[26:27], v[26:27], v[40:41], v[42:43] op_sel_hi:[1,1,0]
                                        ; implicit-def: $vgpr27
	v_cmp_ngt_f32_e64 s0, 0x3f200000, |v26|
	s_and_saveexec_b32 s1, s0
	s_delay_alu instid0(SALU_CYCLE_1)
	s_xor_b32 s0, exec_lo, s1
	s_cbranch_execz .LBB0_33
; %bb.32:                               ;   in Loop: Header=BB0_3 Depth=1
	v_add_f32_e64 v27, |v26|, |v26|
	s_delay_alu instid0(VALU_DEP_1) | instskip(SKIP_1) | instid1(VALU_DEP_2)
	v_mul_f32_e32 v40, 0x3fb8aa3b, v27
	v_cmp_ngt_f32_e32 vcc_lo, 0xc2ce8ed0, v27
	v_rndne_f32_e32 v41, v40
	v_fma_f32 v42, 0x3fb8aa3b, v27, -v40
	s_delay_alu instid0(VALU_DEP_2) | instskip(NEXT) | instid1(VALU_DEP_2)
	v_sub_f32_e32 v40, v40, v41
	v_fmac_f32_e32 v42, 0x32a5705f, v27
	v_cvt_i32_f32_e32 v41, v41
	s_delay_alu instid0(VALU_DEP_2) | instskip(NEXT) | instid1(VALU_DEP_1)
	v_add_f32_e32 v40, v40, v42
	v_exp_f32_e32 v40, v40
	v_nop
	s_delay_alu instid0(TRANS32_DEP_1) | instskip(NEXT) | instid1(VALU_DEP_1)
	v_ldexp_f32 v40, v40, v41
	v_cndmask_b32_e32 v40, 0, v40, vcc_lo
	v_cmp_nlt_f32_e32 vcc_lo, 0x42b17218, v27
	s_delay_alu instid0(VALU_DEP_2) | instskip(NEXT) | instid1(VALU_DEP_1)
	v_cndmask_b32_e32 v27, 0x7f800000, v40, vcc_lo
	v_add_f32_e32 v27, 1.0, v27
	s_delay_alu instid0(VALU_DEP_1) | instskip(SKIP_1) | instid1(TRANS32_DEP_1)
	v_rcp_f32_e32 v27, v27
	v_nop
	v_fma_f32 v27, v27, -2.0, 1.0
.LBB0_33:                               ;   in Loop: Header=BB0_3 Depth=1
	s_and_not1_saveexec_b32 s0, s0
	s_cbranch_execz .LBB0_35
; %bb.34:                               ;   in Loop: Header=BB0_3 Depth=1
	v_mul_f32_e32 v27, v26, v26
	s_delay_alu instid0(VALU_DEP_1) | instskip(NEXT) | instid1(VALU_DEP_1)
	v_fmaak_f32 v40, s5, v27, 0x3ca908c9
	v_fmaak_f32 v40, v27, v40, 0xbd5c1c4e
	s_delay_alu instid0(VALU_DEP_1) | instskip(NEXT) | instid1(VALU_DEP_1)
	v_fmaak_f32 v40, v27, v40, 0x3e088382
	v_fmaak_f32 v40, v27, v40, 0xbeaaaa99
	s_delay_alu instid0(VALU_DEP_1) | instskip(NEXT) | instid1(VALU_DEP_1)
	v_mul_f32_e64 v40, |v26|, v40
	v_fma_f32 v27, v27, v40, |v26|
.LBB0_35:                               ;   in Loop: Header=BB0_3 Depth=1
	s_or_b32 exec_lo, exec_lo, s0
	v_readlane_b32 s20, v56, 20
	v_mov_b64_e32 v[40:41], s[18:19]
	v_mov_b64_e32 v[42:43], s[44:45]
	v_readlane_b32 s21, v56, 21
	v_readlane_b32 s22, v56, 22
	;; [unrolled: 1-line block ×3, first 2 shown]
	v_bfi_b32 v29, 0x7fffffff, v39, v29
	v_readlane_b32 s24, v56, 24
	s_mov_b64 s[0:1], s[20:21]
	v_pk_mul_f32 v[40:41], v[36:37], v[40:41]
	s_mov_b64 s[2:3], s[22:23]
	v_readlane_b32 s20, v56, 31
	v_mov_b64_e32 v[44:45], s[0:1]
	v_readlane_b32 s22, v55, 1
	v_readlane_b32 s23, v55, 2
	v_pk_mul_f32 v[42:43], v[36:37], v[42:43]
	v_add_f32_e32 v48, v40, v41
	v_readlane_b32 s25, v56, 25
	v_readlane_b32 s26, v56, 26
	v_mov_b64_e32 v[46:47], s[22:23]
	v_add_f32_e32 v49, v42, v43
	v_mov_b64_e32 v[42:43], s[2:3]
	v_pk_mul_f32 v[44:45], v[34:35], v[44:45]
	v_readlane_b32 s0, v56, 28
	v_readlane_b32 s1, v56, 29
	;; [unrolled: 1-line block ×3, first 2 shown]
	v_pk_mul_f32 v[40:41], v[34:35], v[46:47]
	v_readlane_b32 s27, v56, 27
	v_pk_mul_f32 v[42:43], v[32:33], v[42:43]
	v_add_f32_e32 v44, v48, v44
	v_mov_b64_e32 v[46:47], s[0:1]
	v_add_f32_e32 v40, v49, v40
	v_readlane_b32 s21, v55, 0
	s_delay_alu instid0(VALU_DEP_4) | instskip(NEXT) | instid1(VALU_DEP_3)
	v_add_f32_e32 v48, v44, v45
	v_add_f32_e32 v40, v40, v41
	v_pk_mul_f32 v[44:45], v[32:33], v[46:47]
	s_delay_alu instid0(VALU_DEP_3) | instskip(NEXT) | instid1(VALU_DEP_1)
	v_add_f32_e32 v41, v48, v42
	v_dual_add_f32 v41, v41, v43 :: v_dual_add_f32 v40, v40, v44
	s_delay_alu instid0(VALU_DEP_1) | instskip(NEXT) | instid1(VALU_DEP_1)
	v_add_f32_e32 v41, s71, v41
	v_mul_f32_e32 v42, 0xbfb8aa3b, v41
	s_delay_alu instid0(VALU_DEP_3) | instskip(SKIP_2) | instid1(VALU_DEP_4)
	v_add_f32_e32 v40, v40, v45
	v_cmp_nlt_f32_e32 vcc_lo, 0x42ce8ed0, v41
	v_cmp_ngt_f32_e64 s1, 0xc2b17218, v41
	v_rndne_f32_e32 v45, v42
	v_fma_f32 v44, 0xbfb8aa3b, v41, -v42
	s_delay_alu instid0(VALU_DEP_2) | instskip(NEXT) | instid1(VALU_DEP_1)
	v_dual_sub_f32 v42, v42, v45 :: v_dual_add_f32 v40, s76, v40
	v_mul_f32_e32 v43, 0xbfb8aa3b, v40
	s_delay_alu instid0(VALU_DEP_1) | instskip(SKIP_1) | instid1(VALU_DEP_1)
	v_fma_f32 v46, 0xbfb8aa3b, v40, -v43
	v_rndne_f32_e32 v47, v43
	v_dual_sub_f32 v43, v43, v47 :: v_dual_fmac_f32 v46, 0xb2a5705f, v40
	v_fmac_f32_e32 v44, 0xb2a5705f, v41
	v_cmp_nlt_f32_e64 s0, 0x42ce8ed0, v40
	v_cmp_ngt_f32_e64 s2, 0xc2b17218, v40
	s_delay_alu instid0(VALU_DEP_3) | instskip(SKIP_2) | instid1(VALU_DEP_3)
	v_dual_add_f32 v43, v43, v46 :: v_dual_add_f32 v42, v42, v44
	v_cvt_i32_f32_e32 v44, v45
	v_cvt_i32_f32_e32 v45, v47
	v_exp_f32_e32 v43, v43
	s_delay_alu instid0(VALU_DEP_3) | instskip(NEXT) | instid1(TRANS32_DEP_2)
	v_exp_f32_e32 v42, v42
	v_ldexp_f32 v43, v43, v45
	s_delay_alu instid0(TRANS32_DEP_1) | instskip(NEXT) | instid1(VALU_DEP_1)
	v_ldexp_f32 v42, v42, v44
	v_dual_cndmask_b32 v40, 0, v42, vcc_lo :: v_dual_cndmask_b32 v42, 0, v43, s0
	s_delay_alu instid0(VALU_DEP_1) | instskip(NEXT) | instid1(VALU_DEP_2)
	v_cndmask_b32_e64 v41, 0x7f800000, v40, s1
	v_cndmask_b32_e64 v40, 0x7f800000, v42, s2
	s_delay_alu instid0(VALU_DEP_1) | instskip(NEXT) | instid1(VALU_DEP_1)
	v_pk_add_f32 v[40:41], v[40:41], 1.0 op_sel_hi:[1,0]
	v_div_scale_f32 v42, null, v41, v41, 1.0
	s_delay_alu instid0(VALU_DEP_2) | instskip(SKIP_1) | instid1(VALU_DEP_3)
	v_div_scale_f32 v43, null, v40, v40, 1.0
	v_div_scale_f32 v48, vcc_lo, 1.0, v41, 1.0
	v_rcp_f32_e32 v44, v42
	s_delay_alu instid0(VALU_DEP_2) | instskip(NEXT) | instid1(TRANS32_DEP_2)
	v_rcp_f32_e32 v45, v43
	v_fma_f32 v46, -v42, v44, 1.0
	s_delay_alu instid0(TRANS32_DEP_1) | instskip(NEXT) | instid1(VALU_DEP_1)
	v_fma_f32 v47, -v43, v45, 1.0
	v_dual_fmac_f32 v45, v47, v45 :: v_dual_fmac_f32 v44, v46, v44
	v_div_scale_f32 v46, s0, 1.0, v40, 1.0
	s_delay_alu instid0(VALU_DEP_1) | instskip(NEXT) | instid1(VALU_DEP_1)
	v_dual_mul_f32 v49, v46, v45 :: v_dual_mul_f32 v47, v48, v44
	v_dual_fma_f32 v51, -v43, v49, v46 :: v_dual_fma_f32 v50, -v42, v47, v48
	s_delay_alu instid0(VALU_DEP_1) | instskip(NEXT) | instid1(VALU_DEP_1)
	v_dual_fmac_f32 v49, v51, v45 :: v_dual_fmac_f32 v47, v50, v44
	v_dual_fma_f32 v43, -v43, v49, v46 :: v_dual_fma_f32 v42, -v42, v47, v48
	s_delay_alu instid0(VALU_DEP_1) | instskip(SKIP_1) | instid1(VALU_DEP_2)
	v_div_fmas_f32 v42, v42, v44, v47
	s_mov_b32 vcc_lo, s0
	v_div_fmas_f32 v39, v43, v45, v49
	s_delay_alu instid0(VALU_DEP_2) | instskip(NEXT) | instid1(VALU_DEP_2)
	v_div_fixup_f32 v41, v42, v41, 1.0
	v_div_fixup_f32 v40, v39, v40, 1.0
	s_delay_alu instid0(VALU_DEP_2) | instskip(NEXT) | instid1(VALU_DEP_1)
	v_mul_f32_e32 v42, v29, v41
	v_pk_fma_f32 v[28:29], v[28:29], v[40:41], v[42:43] op_sel_hi:[1,1,0]
                                        ; implicit-def: $vgpr29
	s_delay_alu instid0(VALU_DEP_1) | instskip(SKIP_1) | instid1(SALU_CYCLE_1)
	v_cmp_ngt_f32_e64 s0, 0x3f200000, |v28|
	s_and_saveexec_b32 s1, s0
	s_xor_b32 s0, exec_lo, s1
	s_cbranch_execz .LBB0_37
; %bb.36:                               ;   in Loop: Header=BB0_3 Depth=1
	v_add_f32_e64 v29, |v28|, |v28|
	s_delay_alu instid0(VALU_DEP_1) | instskip(SKIP_1) | instid1(VALU_DEP_2)
	v_mul_f32_e32 v39, 0x3fb8aa3b, v29
	v_cmp_ngt_f32_e32 vcc_lo, 0xc2ce8ed0, v29
	v_rndne_f32_e32 v40, v39
	v_fma_f32 v41, 0x3fb8aa3b, v29, -v39
	s_delay_alu instid0(VALU_DEP_2) | instskip(NEXT) | instid1(VALU_DEP_2)
	v_sub_f32_e32 v39, v39, v40
	v_fmac_f32_e32 v41, 0x32a5705f, v29
	v_cvt_i32_f32_e32 v40, v40
	s_delay_alu instid0(VALU_DEP_2) | instskip(NEXT) | instid1(VALU_DEP_1)
	v_add_f32_e32 v39, v39, v41
	v_exp_f32_e32 v39, v39
	v_nop
	s_delay_alu instid0(TRANS32_DEP_1) | instskip(NEXT) | instid1(VALU_DEP_1)
	v_ldexp_f32 v39, v39, v40
	v_cndmask_b32_e32 v39, 0, v39, vcc_lo
	v_cmp_nlt_f32_e32 vcc_lo, 0x42b17218, v29
	s_delay_alu instid0(VALU_DEP_2) | instskip(NEXT) | instid1(VALU_DEP_1)
	v_cndmask_b32_e32 v29, 0x7f800000, v39, vcc_lo
	v_add_f32_e32 v29, 1.0, v29
	s_delay_alu instid0(VALU_DEP_1) | instskip(SKIP_1) | instid1(TRANS32_DEP_1)
	v_rcp_f32_e32 v29, v29
	v_nop
	v_fma_f32 v29, v29, -2.0, 1.0
.LBB0_37:                               ;   in Loop: Header=BB0_3 Depth=1
	s_and_not1_saveexec_b32 s0, s0
	s_cbranch_execz .LBB0_39
; %bb.38:                               ;   in Loop: Header=BB0_3 Depth=1
	v_mul_f32_e32 v29, v28, v28
	s_delay_alu instid0(VALU_DEP_1) | instskip(NEXT) | instid1(VALU_DEP_1)
	v_fmaak_f32 v39, s5, v29, 0x3ca908c9
	v_fmaak_f32 v39, v29, v39, 0xbd5c1c4e
	s_delay_alu instid0(VALU_DEP_1) | instskip(NEXT) | instid1(VALU_DEP_1)
	v_fmaak_f32 v39, v29, v39, 0x3e088382
	v_fmaak_f32 v39, v29, v39, 0xbeaaaa99
	s_delay_alu instid0(VALU_DEP_1) | instskip(NEXT) | instid1(VALU_DEP_1)
	v_mul_f32_e64 v39, |v28|, v39
	v_fma_f32 v29, v29, v39, |v28|
.LBB0_39:                               ;   in Loop: Header=BB0_3 Depth=1
	s_or_b32 exec_lo, exec_lo, s0
	v_readlane_b32 s0, v56, 12
	v_mov_b64_e32 v[40:41], s[40:41]
	v_mov_b64_e32 v[42:43], s[16:17]
	v_readlane_b32 s1, v56, 13
	v_mov_b64_e32 v[46:47], s[84:85]
	v_bfi_b32 v31, 0x7fffffff, v38, v31
	s_delay_alu instid0(VALU_DEP_3) | instskip(SKIP_4) | instid1(VALU_DEP_3)
	v_mov_b64_e32 v[44:45], s[0:1]
	v_pk_mul_f32 v[40:41], v[36:37], v[40:41]
	v_pk_mul_f32 v[42:43], v[36:37], v[42:43]
	v_readlane_b32 s0, v56, 14
	v_readlane_b32 s1, v56, 15
	v_dual_add_f32 v39, v40, v41 :: v_dual_add_f32 v48, v42, v43
	v_pk_mul_f32 v[44:45], v[34:35], v[44:45]
	v_pk_mul_f32 v[40:41], v[34:35], v[46:47]
	s_delay_alu instid0(VALU_DEP_4) | instskip(SKIP_1) | instid1(VALU_DEP_3)
	v_mov_b64_e32 v[42:43], s[0:1]
	v_mov_b64_e32 v[46:47], s[86:87]
	v_add_f32_e32 v40, v48, v40
	v_add_f32_e32 v39, v39, v44
	s_delay_alu instid0(VALU_DEP_4) | instskip(NEXT) | instid1(VALU_DEP_3)
	v_pk_mul_f32 v[42:43], v[32:33], v[42:43]
	v_add_f32_e32 v40, v40, v41
	s_delay_alu instid0(VALU_DEP_3) | instskip(SKIP_1) | instid1(VALU_DEP_1)
	v_add_f32_e32 v39, v39, v45
	v_pk_mul_f32 v[44:45], v[32:33], v[46:47]
	v_dual_add_f32 v39, v39, v42 :: v_dual_add_f32 v40, v40, v44
	s_delay_alu instid0(VALU_DEP_1) | instskip(NEXT) | instid1(VALU_DEP_1)
	v_dual_add_f32 v39, v39, v43 :: v_dual_add_f32 v40, v40, v45
	v_dual_add_f32 v39, s72, v39 :: v_dual_add_f32 v40, s77, v40
	s_delay_alu instid0(VALU_DEP_1) | instskip(SKIP_3) | instid1(VALU_DEP_4)
	v_dual_mul_f32 v41, 0xbfb8aa3b, v39 :: v_dual_mul_f32 v42, 0xbfb8aa3b, v40
	v_cmp_nlt_f32_e64 s0, 0x42ce8ed0, v40
	v_cmp_ngt_f32_e64 s2, 0xc2b17218, v40
	v_cmp_nlt_f32_e32 vcc_lo, 0x42ce8ed0, v39
	v_fma_f32 v43, 0xbfb8aa3b, v39, -v41
	v_fma_f32 v45, 0xbfb8aa3b, v40, -v42
	v_rndne_f32_e32 v46, v42
	v_rndne_f32_e32 v44, v41
	v_cmp_ngt_f32_e64 s1, 0xc2b17218, v39
	v_fmac_f32_e32 v43, 0xb2a5705f, v39
	s_delay_alu instid0(VALU_DEP_4) | instskip(NEXT) | instid1(VALU_DEP_1)
	v_dual_fmac_f32 v45, 0xb2a5705f, v40 :: v_dual_sub_f32 v42, v42, v46
	v_dual_sub_f32 v41, v41, v44 :: v_dual_add_f32 v42, v42, v45
	s_delay_alu instid0(VALU_DEP_1) | instskip(SKIP_2) | instid1(VALU_DEP_4)
	v_add_f32_e32 v41, v41, v43
	v_cvt_i32_f32_e32 v43, v44
	v_cvt_i32_f32_e32 v44, v46
	v_exp_f32_e32 v42, v42
	v_nop
	s_delay_alu instid0(TRANS32_DEP_1) | instskip(NEXT) | instid1(VALU_DEP_1)
	v_ldexp_f32 v42, v42, v44
	v_cndmask_b32_e64 v40, 0, v42, s0
	v_exp_f32_e32 v41, v41
	s_delay_alu instid0(VALU_DEP_1) | instskip(NEXT) | instid1(TRANS32_DEP_1)
	v_cndmask_b32_e64 v40, 0x7f800000, v40, s2
	v_ldexp_f32 v41, v41, v43
	s_delay_alu instid0(VALU_DEP_1) | instskip(NEXT) | instid1(VALU_DEP_1)
	v_cndmask_b32_e32 v39, 0, v41, vcc_lo
	v_cndmask_b32_e64 v41, 0x7f800000, v39, s1
	s_delay_alu instid0(VALU_DEP_1) | instskip(NEXT) | instid1(VALU_DEP_1)
	v_pk_add_f32 v[40:41], v[40:41], 1.0 op_sel_hi:[1,0]
	v_div_scale_f32 v39, null, v41, v41, 1.0
	s_delay_alu instid0(VALU_DEP_2) | instskip(SKIP_1) | instid1(VALU_DEP_3)
	v_div_scale_f32 v42, null, v40, v40, 1.0
	v_div_scale_f32 v47, vcc_lo, 1.0, v41, 1.0
	v_rcp_f32_e32 v43, v39
	s_delay_alu instid0(VALU_DEP_2) | instskip(NEXT) | instid1(TRANS32_DEP_2)
	v_rcp_f32_e32 v44, v42
	v_fma_f32 v45, -v39, v43, 1.0
	s_delay_alu instid0(TRANS32_DEP_1) | instskip(NEXT) | instid1(VALU_DEP_1)
	v_fma_f32 v46, -v42, v44, 1.0
	v_dual_fmac_f32 v43, v45, v43 :: v_dual_fmac_f32 v44, v46, v44
	v_div_scale_f32 v45, s0, 1.0, v40, 1.0
	s_delay_alu instid0(VALU_DEP_2) | instskip(NEXT) | instid1(VALU_DEP_1)
	v_mul_f32_e32 v46, v47, v43
	v_fma_f32 v49, -v39, v46, v47
	s_delay_alu instid0(VALU_DEP_1) | instskip(NEXT) | instid1(VALU_DEP_1)
	v_fmac_f32_e32 v46, v49, v43
	v_dual_mul_f32 v48, v45, v44 :: v_dual_fma_f32 v39, -v39, v46, v47
	s_delay_alu instid0(VALU_DEP_1) | instskip(NEXT) | instid1(VALU_DEP_1)
	v_fma_f32 v50, -v42, v48, v45
	v_fmac_f32_e32 v48, v50, v44
	s_delay_alu instid0(VALU_DEP_3) | instskip(SKIP_1) | instid1(VALU_DEP_2)
	v_div_fmas_f32 v39, v39, v43, v46
	s_mov_b32 vcc_lo, s0
	v_fma_f32 v42, -v42, v48, v45
	s_delay_alu instid0(VALU_DEP_2) | instskip(NEXT) | instid1(VALU_DEP_2)
	v_div_fixup_f32 v39, v39, v41, 1.0
	v_div_fmas_f32 v38, v42, v44, v48
	s_delay_alu instid0(VALU_DEP_1) | instskip(NEXT) | instid1(VALU_DEP_3)
	v_div_fixup_f32 v38, v38, v40, 1.0
	v_mul_f32_e32 v40, v31, v39
	s_delay_alu instid0(VALU_DEP_1) | instskip(NEXT) | instid1(VALU_DEP_1)
	v_pk_fma_f32 v[30:31], v[30:31], v[38:39], v[40:41] op_sel_hi:[1,1,0]
                                        ; implicit-def: $vgpr31
	v_cmp_ngt_f32_e64 s0, 0x3f200000, |v30|
	s_and_saveexec_b32 s1, s0
	s_delay_alu instid0(SALU_CYCLE_1)
	s_xor_b32 s0, exec_lo, s1
	s_cbranch_execz .LBB0_41
; %bb.40:                               ;   in Loop: Header=BB0_3 Depth=1
	v_add_f32_e64 v31, |v30|, |v30|
	s_delay_alu instid0(VALU_DEP_1) | instskip(SKIP_1) | instid1(VALU_DEP_2)
	v_mul_f32_e32 v38, 0x3fb8aa3b, v31
	v_cmp_ngt_f32_e32 vcc_lo, 0xc2ce8ed0, v31
	v_rndne_f32_e32 v39, v38
	v_fma_f32 v40, 0x3fb8aa3b, v31, -v38
	s_delay_alu instid0(VALU_DEP_2) | instskip(NEXT) | instid1(VALU_DEP_2)
	v_sub_f32_e32 v38, v38, v39
	v_fmac_f32_e32 v40, 0x32a5705f, v31
	v_cvt_i32_f32_e32 v39, v39
	s_delay_alu instid0(VALU_DEP_2) | instskip(NEXT) | instid1(VALU_DEP_1)
	v_add_f32_e32 v38, v38, v40
	v_exp_f32_e32 v38, v38
	v_nop
	s_delay_alu instid0(TRANS32_DEP_1) | instskip(NEXT) | instid1(VALU_DEP_1)
	v_ldexp_f32 v38, v38, v39
	v_cndmask_b32_e32 v38, 0, v38, vcc_lo
	v_cmp_nlt_f32_e32 vcc_lo, 0x42b17218, v31
	s_delay_alu instid0(VALU_DEP_2) | instskip(NEXT) | instid1(VALU_DEP_1)
	v_cndmask_b32_e32 v31, 0x7f800000, v38, vcc_lo
	v_add_f32_e32 v31, 1.0, v31
	s_delay_alu instid0(VALU_DEP_1) | instskip(SKIP_1) | instid1(TRANS32_DEP_1)
	v_rcp_f32_e32 v31, v31
	v_nop
	v_fma_f32 v31, v31, -2.0, 1.0
.LBB0_41:                               ;   in Loop: Header=BB0_3 Depth=1
	s_and_not1_saveexec_b32 s0, s0
	s_cbranch_execz .LBB0_2
; %bb.42:                               ;   in Loop: Header=BB0_3 Depth=1
	v_mul_f32_e32 v31, v30, v30
	s_delay_alu instid0(VALU_DEP_1) | instskip(NEXT) | instid1(VALU_DEP_1)
	v_fmaak_f32 v38, s5, v31, 0x3ca908c9
	v_fmaak_f32 v38, v31, v38, 0xbd5c1c4e
	s_delay_alu instid0(VALU_DEP_1) | instskip(NEXT) | instid1(VALU_DEP_1)
	v_fmaak_f32 v38, v31, v38, 0x3e088382
	v_fmaak_f32 v38, v31, v38, 0xbeaaaa99
	s_delay_alu instid0(VALU_DEP_1) | instskip(NEXT) | instid1(VALU_DEP_1)
	v_mul_f32_e64 v38, |v30|, v38
	v_fma_f32 v31, v31, v38, |v30|
	s_branch .LBB0_2
.LBB0_43:
	s_endpgm
	.section	.rodata,"a",@progbits
	.p2align	6, 0x0
	.amdhsa_kernel _Z14lstm_inferencePKfS0_S0_S0_S0_S0_Pf
		.amdhsa_group_segment_fixed_size 0
		.amdhsa_private_segment_fixed_size 0
		.amdhsa_kernarg_size 312
		.amdhsa_user_sgpr_count 2
		.amdhsa_user_sgpr_dispatch_ptr 0
		.amdhsa_user_sgpr_queue_ptr 0
		.amdhsa_user_sgpr_kernarg_segment_ptr 1
		.amdhsa_user_sgpr_dispatch_id 0
		.amdhsa_user_sgpr_kernarg_preload_length 0
		.amdhsa_user_sgpr_kernarg_preload_offset 0
		.amdhsa_user_sgpr_private_segment_size 0
		.amdhsa_wavefront_size32 1
		.amdhsa_uses_dynamic_stack 0
		.amdhsa_enable_private_segment 0
		.amdhsa_system_sgpr_workgroup_id_x 1
		.amdhsa_system_sgpr_workgroup_id_y 0
		.amdhsa_system_sgpr_workgroup_id_z 0
		.amdhsa_system_sgpr_workgroup_info 0
		.amdhsa_system_vgpr_workitem_id 0
		.amdhsa_next_free_vgpr 57
		.amdhsa_next_free_sgpr 104
		.amdhsa_named_barrier_count 0
		.amdhsa_reserve_vcc 1
		.amdhsa_float_round_mode_32 0
		.amdhsa_float_round_mode_16_64 0
		.amdhsa_float_denorm_mode_32 3
		.amdhsa_float_denorm_mode_16_64 3
		.amdhsa_fp16_overflow 0
		.amdhsa_memory_ordered 1
		.amdhsa_forward_progress 1
		.amdhsa_inst_pref_size 69
		.amdhsa_round_robin_scheduling 0
		.amdhsa_exception_fp_ieee_invalid_op 0
		.amdhsa_exception_fp_denorm_src 0
		.amdhsa_exception_fp_ieee_div_zero 0
		.amdhsa_exception_fp_ieee_overflow 0
		.amdhsa_exception_fp_ieee_underflow 0
		.amdhsa_exception_fp_ieee_inexact 0
		.amdhsa_exception_int_div_zero 0
	.end_amdhsa_kernel
	.text
.Lfunc_end0:
	.size	_Z14lstm_inferencePKfS0_S0_S0_S0_S0_Pf, .Lfunc_end0-_Z14lstm_inferencePKfS0_S0_S0_S0_S0_Pf
                                        ; -- End function
	.set _Z14lstm_inferencePKfS0_S0_S0_S0_S0_Pf.num_vgpr, 57
	.set _Z14lstm_inferencePKfS0_S0_S0_S0_S0_Pf.num_agpr, 0
	.set _Z14lstm_inferencePKfS0_S0_S0_S0_S0_Pf.numbered_sgpr, 104
	.set _Z14lstm_inferencePKfS0_S0_S0_S0_S0_Pf.num_named_barrier, 0
	.set _Z14lstm_inferencePKfS0_S0_S0_S0_S0_Pf.private_seg_size, 0
	.set _Z14lstm_inferencePKfS0_S0_S0_S0_S0_Pf.uses_vcc, 1
	.set _Z14lstm_inferencePKfS0_S0_S0_S0_S0_Pf.uses_flat_scratch, 0
	.set _Z14lstm_inferencePKfS0_S0_S0_S0_S0_Pf.has_dyn_sized_stack, 0
	.set _Z14lstm_inferencePKfS0_S0_S0_S0_S0_Pf.has_recursion, 0
	.set _Z14lstm_inferencePKfS0_S0_S0_S0_S0_Pf.has_indirect_call, 0
	.section	.AMDGPU.csdata,"",@progbits
; Kernel info:
; codeLenInByte = 8792
; TotalNumSgprs: 106
; NumVgprs: 57
; ScratchSize: 0
; MemoryBound: 1
; FloatMode: 240
; IeeeMode: 1
; LDSByteSize: 0 bytes/workgroup (compile time only)
; SGPRBlocks: 0
; VGPRBlocks: 3
; NumSGPRsForWavesPerEU: 106
; NumVGPRsForWavesPerEU: 57
; NamedBarCnt: 0
; Occupancy: 16
; WaveLimiterHint : 0
; COMPUTE_PGM_RSRC2:SCRATCH_EN: 0
; COMPUTE_PGM_RSRC2:USER_SGPR: 2
; COMPUTE_PGM_RSRC2:TRAP_HANDLER: 0
; COMPUTE_PGM_RSRC2:TGID_X_EN: 1
; COMPUTE_PGM_RSRC2:TGID_Y_EN: 0
; COMPUTE_PGM_RSRC2:TGID_Z_EN: 0
; COMPUTE_PGM_RSRC2:TIDIG_COMP_CNT: 0
	.text
	.p2alignl 7, 3214868480
	.fill 96, 4, 3214868480
	.section	.AMDGPU.gpr_maximums,"",@progbits
	.set amdgpu.max_num_vgpr, 0
	.set amdgpu.max_num_agpr, 0
	.set amdgpu.max_num_sgpr, 0
	.text
	.type	__hip_cuid_9f086253b5154566,@object ; @__hip_cuid_9f086253b5154566
	.section	.bss,"aw",@nobits
	.globl	__hip_cuid_9f086253b5154566
__hip_cuid_9f086253b5154566:
	.byte	0                               ; 0x0
	.size	__hip_cuid_9f086253b5154566, 1

	.ident	"AMD clang version 22.0.0git (https://github.com/RadeonOpenCompute/llvm-project roc-7.2.4 26084 f58b06dce1f9c15707c5f808fd002e18c2accf7e)"
	.section	".note.GNU-stack","",@progbits
	.addrsig
	.addrsig_sym __hip_cuid_9f086253b5154566
	.amdgpu_metadata
---
amdhsa.kernels:
  - .args:
      - .actual_access:  read_only
        .address_space:  global
        .offset:         0
        .size:           8
        .value_kind:     global_buffer
      - .actual_access:  read_only
        .address_space:  global
        .offset:         8
        .size:           8
        .value_kind:     global_buffer
      - .actual_access:  read_only
        .address_space:  global
        .offset:         16
        .size:           8
        .value_kind:     global_buffer
      - .actual_access:  read_only
        .address_space:  global
        .offset:         24
        .size:           8
        .value_kind:     global_buffer
      - .actual_access:  read_only
        .address_space:  global
        .offset:         32
        .size:           8
        .value_kind:     global_buffer
      - .actual_access:  read_only
        .address_space:  global
        .offset:         40
        .size:           8
        .value_kind:     global_buffer
      - .actual_access:  write_only
        .address_space:  global
        .offset:         48
        .size:           8
        .value_kind:     global_buffer
      - .offset:         56
        .size:           4
        .value_kind:     hidden_block_count_x
      - .offset:         60
        .size:           4
        .value_kind:     hidden_block_count_y
      - .offset:         64
        .size:           4
        .value_kind:     hidden_block_count_z
      - .offset:         68
        .size:           2
        .value_kind:     hidden_group_size_x
      - .offset:         70
        .size:           2
        .value_kind:     hidden_group_size_y
      - .offset:         72
        .size:           2
        .value_kind:     hidden_group_size_z
      - .offset:         74
        .size:           2
        .value_kind:     hidden_remainder_x
      - .offset:         76
        .size:           2
        .value_kind:     hidden_remainder_y
      - .offset:         78
        .size:           2
        .value_kind:     hidden_remainder_z
      - .offset:         96
        .size:           8
        .value_kind:     hidden_global_offset_x
      - .offset:         104
        .size:           8
        .value_kind:     hidden_global_offset_y
      - .offset:         112
        .size:           8
        .value_kind:     hidden_global_offset_z
      - .offset:         120
        .size:           2
        .value_kind:     hidden_grid_dims
    .group_segment_fixed_size: 0
    .kernarg_segment_align: 8
    .kernarg_segment_size: 312
    .language:       OpenCL C
    .language_version:
      - 2
      - 0
    .max_flat_workgroup_size: 1024
    .name:           _Z14lstm_inferencePKfS0_S0_S0_S0_S0_Pf
    .private_segment_fixed_size: 0
    .sgpr_count:     106
    .sgpr_spill_count: 62
    .symbol:         _Z14lstm_inferencePKfS0_S0_S0_S0_S0_Pf.kd
    .uniform_work_group_size: 1
    .uses_dynamic_stack: false
    .vgpr_count:     57
    .vgpr_spill_count: 0
    .wavefront_size: 32
amdhsa.target:   amdgcn-amd-amdhsa--gfx1250
amdhsa.version:
  - 1
  - 2
...

	.end_amdgpu_metadata
